;; amdgpu-corpus repo=pytorch/pytorch kind=compiled arch=gfx1100 opt=O3
	.text
	.amdgcn_target "amdgcn-amd-amdhsa--gfx1100"
	.amdhsa_code_object_version 6
	.section	.text._ZN2at6native12_GLOBAL__N_125multi_tensor_apply_kernelINS1_18TensorListMetadataILi3EEENS1_19FusedSgdMathFunctorIdLi3EEEJddPfddbbbS7_S7_EEEvT_T0_DpT1_,"axG",@progbits,_ZN2at6native12_GLOBAL__N_125multi_tensor_apply_kernelINS1_18TensorListMetadataILi3EEENS1_19FusedSgdMathFunctorIdLi3EEEJddPfddbbbS7_S7_EEEvT_T0_DpT1_,comdat
	.globl	_ZN2at6native12_GLOBAL__N_125multi_tensor_apply_kernelINS1_18TensorListMetadataILi3EEENS1_19FusedSgdMathFunctorIdLi3EEEJddPfddbbbS7_S7_EEEvT_T0_DpT1_ ; -- Begin function _ZN2at6native12_GLOBAL__N_125multi_tensor_apply_kernelINS1_18TensorListMetadataILi3EEENS1_19FusedSgdMathFunctorIdLi3EEEJddPfddbbbS7_S7_EEEvT_T0_DpT1_
	.p2align	8
	.type	_ZN2at6native12_GLOBAL__N_125multi_tensor_apply_kernelINS1_18TensorListMetadataILi3EEENS1_19FusedSgdMathFunctorIdLi3EEEJddPfddbbbS7_S7_EEEvT_T0_DpT1_,@function
_ZN2at6native12_GLOBAL__N_125multi_tensor_apply_kernelINS1_18TensorListMetadataILi3EEENS1_19FusedSgdMathFunctorIdLi3EEEJddPfddbbbS7_S7_EEEvT_T0_DpT1_: ; @_ZN2at6native12_GLOBAL__N_125multi_tensor_apply_kernelINS1_18TensorListMetadataILi3EEENS1_19FusedSgdMathFunctorIdLi3EEEJddPfddbbbS7_S7_EEEvT_T0_DpT1_
; %bb.0:
	s_load_b128 s[24:27], s[0:1], 0xc80
	s_waitcnt lgkmcnt(0)
	s_cmp_eq_u64 s[26:27], 0
	s_cselect_b32 s2, -1, 0
	s_delay_alu instid0(SALU_CYCLE_1)
	s_and_b32 vcc_lo, exec_lo, s2
	s_cbranch_vccnz .LBB0_2
; %bb.1:
	s_load_b32 s2, s[26:27], 0x0
	s_waitcnt lgkmcnt(0)
	v_cmp_neq_f32_e64 s2, s2, 1.0
.LBB0_2:
	s_delay_alu instid0(VALU_DEP_1)
	s_and_not1_b32 vcc_lo, exec_lo, s2
	s_cbranch_vccnz .LBB0_74
; %bb.3:
	s_load_b256 s[16:23], s[0:1], 0xc50
	v_mov_b32_e32 v1, s15
	s_add_u32 s2, s0, s15
	s_mul_hi_u32 s3, s15, 3
	s_mul_i32 s15, s15, 3
	s_addc_u32 s4, s1, 0
	s_add_u32 s2, s2, s15
	s_addc_u32 s3, s4, s3
	s_mov_b32 s7, 0
	s_waitcnt lgkmcnt(0)
	v_mov_b32_e32 v26, s23
	global_load_u8 v1, v1, s[0:1] offset:1536
	s_clause 0x1
	s_load_b64 s[12:13], s[0:1], 0xc70
	s_load_b32 s8, s[2:3], 0x740
	v_mov_b32_e32 v25, s22
	s_cmp_eq_u64 s[20:21], 0
	s_waitcnt vmcnt(0)
	v_readfirstlane_b32 s5, v1
	s_cbranch_scc1 .LBB0_5
; %bb.4:
	s_load_b32 s2, s[20:21], 0x0
	s_waitcnt lgkmcnt(0)
	v_cvt_f64_f32_e32 v[25:26], s2
.LBB0_5:
	s_load_b32 s4, s[0:1], 0xc78
	s_waitcnt lgkmcnt(0)
	s_bitcmp1_b32 s4, 0
	s_cselect_b32 s2, -1, 0
	s_bitcmp1_b32 s4, 8
	s_cselect_b32 s3, -1, 0
	;; [unrolled: 2-line block ×3, first 2 shown]
	s_and_b32 s5, s5, 0xff
	s_ashr_i32 s9, s8, 31
	s_lshl_b32 s5, s5, 3
	s_clause 0x3
	s_load_b64 s[14:15], s[0:1], s5 offset:0x480
	s_load_b64 s[20:21], s[0:1], s5 offset:0x0
	s_load_b64 s[26:27], s[0:1], s5 offset:0x180
	s_load_b64 s[28:29], s[0:1], s5 offset:0x300
	s_lshl_b64 s[10:11], s[8:9], 16
	s_waitcnt lgkmcnt(0)
	s_sub_u32 s10, s14, s10
	s_subb_u32 s11, s15, s11
	s_lshl_b64 s[8:9], s[8:9], 19
	s_delay_alu instid0(SALU_CYCLE_1)
	s_add_u32 s22, s20, s8
	s_addc_u32 s23, s21, s9
	s_and_b32 s5, s22, 31
	s_add_u32 s26, s26, s8
	s_addc_u32 s27, s27, s9
	s_and_b32 s6, s26, 31
	;; [unrolled: 3-line block ×3, first 2 shown]
	s_and_b32 s9, s14, 3
	s_delay_alu instid0(SALU_CYCLE_1) | instskip(NEXT) | instid1(SALU_CYCLE_1)
	s_or_b32 s8, s9, s8
	s_or_b32 s6, s8, s6
	s_delay_alu instid0(SALU_CYCLE_1)
	s_or_b32 s6, s6, s5
	s_mov_b32 s5, -1
	s_cmp_eq_u64 s[6:7], 0
	s_cbranch_scc1 .LBB0_60
; %bb.6:
	v_cmp_lt_i64_e64 s5, s[10:11], 1
	s_delay_alu instid0(VALU_DEP_1)
	s_and_b32 vcc_lo, exec_lo, s5
	s_cbranch_vccnz .LBB0_59
; %bb.7:
	v_cmp_neq_f64_e64 s5, s[16:17], 0
	v_add_f64 v[1:2], -s[12:13], 1.0
	s_load_b32 s6, s[0:1], 0xc9c
	v_cmp_gt_i64_e64 s7, 0x10000, s[10:11]
	s_mov_b64 s[20:21], 0
	s_delay_alu instid0(VALU_DEP_1) | instskip(SKIP_4) | instid1(SALU_CYCLE_1)
	s_and_b32 s7, s7, exec_lo
	s_cselect_b32 s15, s11, 0
	s_cselect_b32 s14, s10, 0x10000
	s_waitcnt lgkmcnt(0)
	s_and_b32 s30, s6, 0xffff
	s_lshl_b32 s31, s30, 1
	s_cmp_lg_u64 s[24:25], 0
	s_mul_i32 s33, s30, 3
	s_cselect_b32 s34, -1, 0
	s_lshl_b32 s35, s30, 2
	s_branch .LBB0_9
.LBB0_8:                                ;   in Loop: Header=BB0_9 Depth=1
	s_or_b32 exec_lo, exec_lo, s6
	s_add_i32 s20, s20, s35
	s_delay_alu instid0(SALU_CYCLE_1) | instskip(NEXT) | instid1(SALU_CYCLE_1)
	s_ashr_i32 s21, s20, 31
	v_cmp_lt_i64_e64 s6, s[20:21], s[14:15]
	s_delay_alu instid0(VALU_DEP_1)
	s_and_b32 vcc_lo, exec_lo, s6
	s_cbranch_vccz .LBB0_59
.LBB0_9:                                ; =>This Inner Loop Header: Depth=1
	v_add_co_u32 v3, s6, s20, v0
	s_delay_alu instid0(VALU_DEP_1) | instskip(SKIP_2) | instid1(VALU_DEP_2)
	v_add_co_ci_u32_e64 v4, null, s21, 0, s6
	v_mov_b32_e32 v21, 0
	v_mov_b32_e32 v22, 0
	;; [unrolled: 1-line block ×3, first 2 shown]
	s_delay_alu instid0(VALU_DEP_4) | instskip(NEXT) | instid1(VALU_DEP_3)
	v_cmp_gt_i64_e64 s6, s[14:15], v[3:4]
	v_dual_mov_b32 v9, v21 :: v_dual_mov_b32 v10, v22
	v_mov_b32_e32 v20, v22
	s_delay_alu instid0(VALU_DEP_3)
	s_and_saveexec_b32 s7, s6
	s_cbranch_execz .LBB0_11
; %bb.10:                               ;   in Loop: Header=BB0_9 Depth=1
	v_lshlrev_b64 v[5:6], 3, v[3:4]
	s_delay_alu instid0(VALU_DEP_1) | instskip(NEXT) | instid1(VALU_DEP_2)
	v_add_co_u32 v7, vcc_lo, s22, v5
	v_add_co_ci_u32_e32 v8, vcc_lo, s23, v6, vcc_lo
	v_add_co_u32 v5, vcc_lo, s26, v5
	v_add_co_ci_u32_e32 v6, vcc_lo, s27, v6, vcc_lo
	global_load_b64 v[19:20], v[7:8], off
	global_load_b64 v[9:10], v[5:6], off
.LBB0_11:                               ;   in Loop: Header=BB0_9 Depth=1
	s_or_b32 exec_lo, exec_lo, s7
	s_and_saveexec_b32 s7, s6
	s_cbranch_execz .LBB0_13
; %bb.12:                               ;   in Loop: Header=BB0_9 Depth=1
	v_lshlrev_b64 v[5:6], 3, v[3:4]
	s_delay_alu instid0(VALU_DEP_1) | instskip(NEXT) | instid1(VALU_DEP_2)
	v_add_co_u32 v5, vcc_lo, s28, v5
	v_add_co_ci_u32_e32 v6, vcc_lo, s29, v6, vcc_lo
	global_load_b64 v[21:22], v[5:6], off
.LBB0_13:                               ;   in Loop: Header=BB0_9 Depth=1
	s_or_b32 exec_lo, exec_lo, s7
	v_add_co_u32 v5, vcc_lo, v3, s30
	v_add_co_ci_u32_e32 v6, vcc_lo, 0, v4, vcc_lo
	v_mov_b32_e32 v27, 0
	v_mov_b32_e32 v28, 0
	s_delay_alu instid0(VALU_DEP_2) | instskip(NEXT) | instid1(VALU_DEP_4)
	v_mov_b32_e32 v23, v27
	v_cmp_gt_i64_e64 s7, s[14:15], v[5:6]
	s_delay_alu instid0(VALU_DEP_3) | instskip(SKIP_1) | instid1(VALU_DEP_3)
	v_dual_mov_b32 v11, v27 :: v_dual_mov_b32 v12, v28
	v_mov_b32_e32 v24, v28
	s_and_saveexec_b32 s8, s7
	s_cbranch_execz .LBB0_15
; %bb.14:                               ;   in Loop: Header=BB0_9 Depth=1
	v_lshlrev_b64 v[7:8], 3, v[5:6]
	s_delay_alu instid0(VALU_DEP_1) | instskip(NEXT) | instid1(VALU_DEP_2)
	v_add_co_u32 v11, vcc_lo, s22, v7
	v_add_co_ci_u32_e32 v12, vcc_lo, s23, v8, vcc_lo
	v_add_co_u32 v7, vcc_lo, s26, v7
	v_add_co_ci_u32_e32 v8, vcc_lo, s27, v8, vcc_lo
	global_load_b64 v[23:24], v[11:12], off
	global_load_b64 v[11:12], v[7:8], off
.LBB0_15:                               ;   in Loop: Header=BB0_9 Depth=1
	s_or_b32 exec_lo, exec_lo, s8
	s_and_saveexec_b32 s8, s7
	s_cbranch_execz .LBB0_17
; %bb.16:                               ;   in Loop: Header=BB0_9 Depth=1
	v_lshlrev_b64 v[7:8], 3, v[5:6]
	s_delay_alu instid0(VALU_DEP_1) | instskip(NEXT) | instid1(VALU_DEP_2)
	v_add_co_u32 v7, vcc_lo, s28, v7
	v_add_co_ci_u32_e32 v8, vcc_lo, s29, v8, vcc_lo
	global_load_b64 v[27:28], v[7:8], off
.LBB0_17:                               ;   in Loop: Header=BB0_9 Depth=1
	s_or_b32 exec_lo, exec_lo, s8
	v_add_co_u32 v7, vcc_lo, v3, s31
	v_add_co_ci_u32_e32 v8, vcc_lo, 0, v4, vcc_lo
	v_mov_b32_e32 v31, 0
	v_mov_b32_e32 v32, 0
	s_delay_alu instid0(VALU_DEP_2) | instskip(NEXT) | instid1(VALU_DEP_4)
	v_mov_b32_e32 v29, v31
	v_cmp_gt_i64_e64 s8, s[14:15], v[7:8]
	s_delay_alu instid0(VALU_DEP_3) | instskip(SKIP_1) | instid1(VALU_DEP_3)
	v_dual_mov_b32 v15, v31 :: v_dual_mov_b32 v16, v32
	v_mov_b32_e32 v30, v32
	;; [unrolled: 33-line block ×3, first 2 shown]
	s_and_saveexec_b32 s21, s9
	s_cbranch_execnz .LBB0_50
; %bb.22:                               ;   in Loop: Header=BB0_9 Depth=1
	s_or_b32 exec_lo, exec_lo, s21
	s_and_saveexec_b32 s21, s9
	s_cbranch_execnz .LBB0_51
.LBB0_23:                               ;   in Loop: Header=BB0_9 Depth=1
	s_or_b32 exec_lo, exec_lo, s21
	s_delay_alu instid0(SALU_CYCLE_1)
	s_and_not1_b32 vcc_lo, exec_lo, s34
	s_cbranch_vccnz .LBB0_25
.LBB0_24:                               ;   in Loop: Header=BB0_9 Depth=1
	s_load_b32 s21, s[24:25], 0x0
	s_waitcnt lgkmcnt(0)
	v_cvt_f64_f32_e32 v[37:38], s21
	s_waitcnt vmcnt(0)
	s_delay_alu instid0(VALU_DEP_1) | instskip(NEXT) | instid1(VALU_DEP_1)
	v_div_scale_f64 v[39:40], null, v[37:38], v[37:38], v[9:10]
	v_rcp_f64_e32 v[41:42], v[39:40]
	s_waitcnt_depctr 0xfff
	v_fma_f64 v[43:44], -v[39:40], v[41:42], 1.0
	s_delay_alu instid0(VALU_DEP_1) | instskip(NEXT) | instid1(VALU_DEP_1)
	v_fma_f64 v[41:42], v[41:42], v[43:44], v[41:42]
	v_fma_f64 v[43:44], -v[39:40], v[41:42], 1.0
	s_delay_alu instid0(VALU_DEP_1) | instskip(SKIP_1) | instid1(VALU_DEP_1)
	v_fma_f64 v[41:42], v[41:42], v[43:44], v[41:42]
	v_div_scale_f64 v[43:44], vcc_lo, v[9:10], v[37:38], v[9:10]
	v_mul_f64 v[45:46], v[43:44], v[41:42]
	s_delay_alu instid0(VALU_DEP_1) | instskip(NEXT) | instid1(VALU_DEP_1)
	v_fma_f64 v[39:40], -v[39:40], v[45:46], v[43:44]
	v_div_fmas_f64 v[39:40], v[39:40], v[41:42], v[45:46]
	s_delay_alu instid0(VALU_DEP_1)
	v_div_fixup_f64 v[9:10], v[39:40], v[37:38], v[9:10]
.LBB0_25:                               ;   in Loop: Header=BB0_9 Depth=1
	s_and_not1_b32 vcc_lo, exec_lo, s34
	s_cbranch_vccnz .LBB0_27
; %bb.26:                               ;   in Loop: Header=BB0_9 Depth=1
	s_load_b32 s21, s[24:25], 0x0
	s_waitcnt lgkmcnt(0)
	v_cvt_f64_f32_e32 v[37:38], s21
	s_waitcnt vmcnt(0)
	s_delay_alu instid0(VALU_DEP_1) | instskip(NEXT) | instid1(VALU_DEP_1)
	v_div_scale_f64 v[39:40], null, v[37:38], v[37:38], v[11:12]
	v_rcp_f64_e32 v[41:42], v[39:40]
	s_waitcnt_depctr 0xfff
	v_fma_f64 v[43:44], -v[39:40], v[41:42], 1.0
	s_delay_alu instid0(VALU_DEP_1) | instskip(NEXT) | instid1(VALU_DEP_1)
	v_fma_f64 v[41:42], v[41:42], v[43:44], v[41:42]
	v_fma_f64 v[43:44], -v[39:40], v[41:42], 1.0
	s_delay_alu instid0(VALU_DEP_1) | instskip(SKIP_1) | instid1(VALU_DEP_1)
	v_fma_f64 v[41:42], v[41:42], v[43:44], v[41:42]
	v_div_scale_f64 v[43:44], vcc_lo, v[11:12], v[37:38], v[11:12]
	v_mul_f64 v[45:46], v[43:44], v[41:42]
	s_delay_alu instid0(VALU_DEP_1) | instskip(NEXT) | instid1(VALU_DEP_1)
	v_fma_f64 v[39:40], -v[39:40], v[45:46], v[43:44]
	v_div_fmas_f64 v[39:40], v[39:40], v[41:42], v[45:46]
	s_delay_alu instid0(VALU_DEP_1)
	v_div_fixup_f64 v[11:12], v[39:40], v[37:38], v[11:12]
.LBB0_27:                               ;   in Loop: Header=BB0_9 Depth=1
	s_and_not1_b32 vcc_lo, exec_lo, s34
	s_cbranch_vccnz .LBB0_29
; %bb.28:                               ;   in Loop: Header=BB0_9 Depth=1
	s_load_b32 s21, s[24:25], 0x0
	s_waitcnt lgkmcnt(0)
	v_cvt_f64_f32_e32 v[37:38], s21
	s_waitcnt vmcnt(0)
	s_delay_alu instid0(VALU_DEP_1) | instskip(NEXT) | instid1(VALU_DEP_1)
	v_div_scale_f64 v[39:40], null, v[37:38], v[37:38], v[15:16]
	v_rcp_f64_e32 v[41:42], v[39:40]
	s_waitcnt_depctr 0xfff
	v_fma_f64 v[43:44], -v[39:40], v[41:42], 1.0
	s_delay_alu instid0(VALU_DEP_1) | instskip(NEXT) | instid1(VALU_DEP_1)
	v_fma_f64 v[41:42], v[41:42], v[43:44], v[41:42]
	v_fma_f64 v[43:44], -v[39:40], v[41:42], 1.0
	s_delay_alu instid0(VALU_DEP_1) | instskip(SKIP_1) | instid1(VALU_DEP_1)
	v_fma_f64 v[41:42], v[41:42], v[43:44], v[41:42]
	v_div_scale_f64 v[43:44], vcc_lo, v[15:16], v[37:38], v[15:16]
	v_mul_f64 v[45:46], v[43:44], v[41:42]
	s_delay_alu instid0(VALU_DEP_1) | instskip(NEXT) | instid1(VALU_DEP_1)
	v_fma_f64 v[39:40], -v[39:40], v[45:46], v[43:44]
	v_div_fmas_f64 v[39:40], v[39:40], v[41:42], v[45:46]
	s_delay_alu instid0(VALU_DEP_1)
	v_div_fixup_f64 v[15:16], v[39:40], v[37:38], v[15:16]
.LBB0_29:                               ;   in Loop: Header=BB0_9 Depth=1
	;; [unrolled: 25-line block ×3, first 2 shown]
	s_waitcnt vmcnt(0)
	s_delay_alu instid0(VALU_DEP_1) | instskip(NEXT) | instid1(VALU_DEP_2)
	v_xor_b32_e32 v38, 0x80000000, v10
	v_cndmask_b32_e64 v37, v9, v9, s3
	s_delay_alu instid0(VALU_DEP_2) | instskip(NEXT) | instid1(VALU_DEP_1)
	v_cndmask_b32_e64 v38, v10, v38, s3
	v_fma_f64 v[39:40], v[19:20], s[16:17], v[37:38]
	s_delay_alu instid0(VALU_DEP_1) | instskip(NEXT) | instid1(VALU_DEP_2)
	v_cndmask_b32_e64 v38, v38, v40, s5
	v_cndmask_b32_e64 v37, v37, v39, s5
	s_delay_alu instid0(VALU_DEP_1) | instskip(NEXT) | instid1(VALU_DEP_1)
	v_mul_f64 v[39:40], v[1:2], v[37:38]
	v_fma_f64 v[21:22], v[21:22], s[18:19], v[39:40]
	s_delay_alu instid0(VALU_DEP_1) | instskip(NEXT) | instid1(VALU_DEP_2)
	v_cndmask_b32_e64 v22, v22, v38, s4
	v_cndmask_b32_e64 v21, v21, v37, s4
	s_and_saveexec_b32 s21, s6
	s_cbranch_execz .LBB0_33
; %bb.32:                               ;   in Loop: Header=BB0_9 Depth=1
	s_delay_alu instid0(VALU_DEP_1) | instskip(NEXT) | instid1(VALU_DEP_1)
	v_fma_f64 v[37:38], v[21:22], s[18:19], v[37:38]
	v_cndmask_b32_e64 v38, v22, v38, s2
	s_delay_alu instid0(VALU_DEP_2) | instskip(NEXT) | instid1(VALU_DEP_1)
	v_cndmask_b32_e64 v37, v21, v37, s2
	v_fma_f64 v[19:20], -v[25:26], v[37:38], v[19:20]
	v_lshlrev_b64 v[37:38], 3, v[3:4]
	s_delay_alu instid0(VALU_DEP_1) | instskip(NEXT) | instid1(VALU_DEP_2)
	v_add_co_u32 v37, vcc_lo, s22, v37
	v_add_co_ci_u32_e32 v38, vcc_lo, s23, v38, vcc_lo
	global_store_b64 v[37:38], v[19:20], off
.LBB0_33:                               ;   in Loop: Header=BB0_9 Depth=1
	s_or_b32 exec_lo, exec_lo, s21
	v_xor_b32_e32 v20, 0x80000000, v12
	v_cndmask_b32_e64 v19, v11, v11, s3
	s_delay_alu instid0(VALU_DEP_2) | instskip(NEXT) | instid1(VALU_DEP_1)
	v_cndmask_b32_e64 v20, v12, v20, s3
	v_fma_f64 v[37:38], v[23:24], s[16:17], v[19:20]
	s_delay_alu instid0(VALU_DEP_1) | instskip(NEXT) | instid1(VALU_DEP_2)
	v_cndmask_b32_e64 v38, v20, v38, s5
	v_cndmask_b32_e64 v37, v19, v37, s5
	s_delay_alu instid0(VALU_DEP_1) | instskip(NEXT) | instid1(VALU_DEP_1)
	v_mul_f64 v[19:20], v[1:2], v[37:38]
	v_fma_f64 v[19:20], v[27:28], s[18:19], v[19:20]
	s_delay_alu instid0(VALU_DEP_1) | instskip(NEXT) | instid1(VALU_DEP_2)
	v_cndmask_b32_e64 v20, v20, v38, s4
	v_cndmask_b32_e64 v19, v19, v37, s4
	s_and_saveexec_b32 s21, s7
	s_cbranch_execz .LBB0_35
; %bb.34:                               ;   in Loop: Header=BB0_9 Depth=1
	s_delay_alu instid0(VALU_DEP_1) | instskip(NEXT) | instid1(VALU_DEP_1)
	v_fma_f64 v[27:28], v[19:20], s[18:19], v[37:38]
	v_cndmask_b32_e64 v28, v20, v28, s2
	s_delay_alu instid0(VALU_DEP_2) | instskip(NEXT) | instid1(VALU_DEP_1)
	v_cndmask_b32_e64 v27, v19, v27, s2
	v_fma_f64 v[23:24], -v[25:26], v[27:28], v[23:24]
	v_lshlrev_b64 v[27:28], 3, v[5:6]
	s_delay_alu instid0(VALU_DEP_1) | instskip(NEXT) | instid1(VALU_DEP_2)
	v_add_co_u32 v27, vcc_lo, s22, v27
	v_add_co_ci_u32_e32 v28, vcc_lo, s23, v28, vcc_lo
	global_store_b64 v[27:28], v[23:24], off
.LBB0_35:                               ;   in Loop: Header=BB0_9 Depth=1
	s_or_b32 exec_lo, exec_lo, s21
	;; [unrolled: 30-line block ×3, first 2 shown]
	v_xor_b32_e32 v28, 0x80000000, v18
	v_cndmask_b32_e64 v27, v17, v17, s3
	s_delay_alu instid0(VALU_DEP_2) | instskip(NEXT) | instid1(VALU_DEP_1)
	v_cndmask_b32_e64 v28, v18, v28, s3
	v_fma_f64 v[29:30], v[33:34], s[16:17], v[27:28]
	s_delay_alu instid0(VALU_DEP_1) | instskip(NEXT) | instid1(VALU_DEP_2)
	v_cndmask_b32_e64 v30, v28, v30, s5
	v_cndmask_b32_e64 v29, v27, v29, s5
	s_delay_alu instid0(VALU_DEP_1) | instskip(NEXT) | instid1(VALU_DEP_1)
	v_mul_f64 v[27:28], v[1:2], v[29:30]
	v_fma_f64 v[27:28], v[35:36], s[18:19], v[27:28]
	s_delay_alu instid0(VALU_DEP_1) | instskip(NEXT) | instid1(VALU_DEP_2)
	v_cndmask_b32_e64 v28, v28, v30, s4
	v_cndmask_b32_e64 v27, v27, v29, s4
	s_and_saveexec_b32 s21, s9
	s_cbranch_execz .LBB0_39
; %bb.38:                               ;   in Loop: Header=BB0_9 Depth=1
	s_delay_alu instid0(VALU_DEP_1) | instskip(SKIP_1) | instid1(VALU_DEP_1)
	v_fma_f64 v[29:30], v[27:28], s[18:19], v[29:30]
	v_lshlrev_b64 v[31:32], 3, v[13:14]
	v_add_co_u32 v31, vcc_lo, s22, v31
	s_delay_alu instid0(VALU_DEP_2) | instskip(NEXT) | instid1(VALU_DEP_4)
	v_add_co_ci_u32_e32 v32, vcc_lo, s23, v32, vcc_lo
	v_cndmask_b32_e64 v30, v28, v30, s2
	v_cndmask_b32_e64 v29, v27, v29, s2
	s_delay_alu instid0(VALU_DEP_1)
	v_fma_f64 v[29:30], -v[25:26], v[29:30], v[33:34]
	global_store_b64 v[31:32], v[29:30], off
.LBB0_39:                               ;   in Loop: Header=BB0_9 Depth=1
	s_or_b32 exec_lo, exec_lo, s21
	s_delay_alu instid0(SALU_CYCLE_1)
	s_and_not1_b32 vcc_lo, exec_lo, s34
	s_cbranch_vccnz .LBB0_46
; %bb.40:                               ;   in Loop: Header=BB0_9 Depth=1
	s_and_saveexec_b32 s21, s6
	s_cbranch_execnz .LBB0_56
; %bb.41:                               ;   in Loop: Header=BB0_9 Depth=1
	s_or_b32 exec_lo, exec_lo, s21
	s_and_saveexec_b32 s21, s7
	s_cbranch_execnz .LBB0_57
.LBB0_42:                               ;   in Loop: Header=BB0_9 Depth=1
	s_or_b32 exec_lo, exec_lo, s21
	s_and_saveexec_b32 s21, s8
	s_cbranch_execnz .LBB0_58
.LBB0_43:                               ;   in Loop: Header=BB0_9 Depth=1
	s_or_b32 exec_lo, exec_lo, s21
	s_and_saveexec_b32 s21, s9
	s_cbranch_execz .LBB0_45
.LBB0_44:                               ;   in Loop: Header=BB0_9 Depth=1
	v_lshlrev_b64 v[9:10], 3, v[13:14]
	s_delay_alu instid0(VALU_DEP_1) | instskip(NEXT) | instid1(VALU_DEP_2)
	v_add_co_u32 v9, vcc_lo, s26, v9
	v_add_co_ci_u32_e32 v10, vcc_lo, s27, v10, vcc_lo
	global_store_b64 v[9:10], v[17:18], off
.LBB0_45:                               ;   in Loop: Header=BB0_9 Depth=1
	s_or_b32 exec_lo, exec_lo, s21
.LBB0_46:                               ;   in Loop: Header=BB0_9 Depth=1
	s_and_saveexec_b32 s21, s6
	s_cbranch_execnz .LBB0_52
; %bb.47:                               ;   in Loop: Header=BB0_9 Depth=1
	s_or_b32 exec_lo, exec_lo, s21
	s_and_saveexec_b32 s6, s7
	s_cbranch_execnz .LBB0_53
.LBB0_48:                               ;   in Loop: Header=BB0_9 Depth=1
	s_or_b32 exec_lo, exec_lo, s6
	s_and_saveexec_b32 s6, s8
	s_cbranch_execnz .LBB0_54
.LBB0_49:                               ;   in Loop: Header=BB0_9 Depth=1
	s_or_b32 exec_lo, exec_lo, s6
	s_and_saveexec_b32 s6, s9
	s_cbranch_execz .LBB0_8
	s_branch .LBB0_55
.LBB0_50:                               ;   in Loop: Header=BB0_9 Depth=1
	v_lshlrev_b64 v[17:18], 3, v[13:14]
	s_delay_alu instid0(VALU_DEP_1) | instskip(NEXT) | instid1(VALU_DEP_2)
	v_add_co_u32 v33, vcc_lo, s22, v17
	v_add_co_ci_u32_e32 v34, vcc_lo, s23, v18, vcc_lo
	v_add_co_u32 v17, vcc_lo, s26, v17
	v_add_co_ci_u32_e32 v18, vcc_lo, s27, v18, vcc_lo
	global_load_b64 v[33:34], v[33:34], off
	global_load_b64 v[17:18], v[17:18], off
	s_or_b32 exec_lo, exec_lo, s21
	s_and_saveexec_b32 s21, s9
	s_cbranch_execz .LBB0_23
.LBB0_51:                               ;   in Loop: Header=BB0_9 Depth=1
	v_lshlrev_b64 v[35:36], 3, v[13:14]
	s_delay_alu instid0(VALU_DEP_1) | instskip(NEXT) | instid1(VALU_DEP_2)
	v_add_co_u32 v35, vcc_lo, s28, v35
	v_add_co_ci_u32_e32 v36, vcc_lo, s29, v36, vcc_lo
	global_load_b64 v[35:36], v[35:36], off
	s_or_b32 exec_lo, exec_lo, s21
	s_delay_alu instid0(SALU_CYCLE_1)
	s_and_not1_b32 vcc_lo, exec_lo, s34
	s_cbranch_vccz .LBB0_24
	s_branch .LBB0_25
.LBB0_52:                               ;   in Loop: Header=BB0_9 Depth=1
	v_lshlrev_b64 v[3:4], 3, v[3:4]
	s_delay_alu instid0(VALU_DEP_1) | instskip(NEXT) | instid1(VALU_DEP_2)
	v_add_co_u32 v3, vcc_lo, s28, v3
	v_add_co_ci_u32_e32 v4, vcc_lo, s29, v4, vcc_lo
	global_store_b64 v[3:4], v[21:22], off
	s_or_b32 exec_lo, exec_lo, s21
	s_and_saveexec_b32 s6, s7
	s_cbranch_execz .LBB0_48
.LBB0_53:                               ;   in Loop: Header=BB0_9 Depth=1
	v_lshlrev_b64 v[3:4], 3, v[5:6]
	s_delay_alu instid0(VALU_DEP_1) | instskip(NEXT) | instid1(VALU_DEP_2)
	v_add_co_u32 v3, vcc_lo, s28, v3
	v_add_co_ci_u32_e32 v4, vcc_lo, s29, v4, vcc_lo
	global_store_b64 v[3:4], v[19:20], off
	s_or_b32 exec_lo, exec_lo, s6
	s_and_saveexec_b32 s6, s8
	s_cbranch_execz .LBB0_49
.LBB0_54:                               ;   in Loop: Header=BB0_9 Depth=1
	v_lshlrev_b64 v[3:4], 3, v[7:8]
	s_delay_alu instid0(VALU_DEP_1) | instskip(NEXT) | instid1(VALU_DEP_2)
	v_add_co_u32 v3, vcc_lo, s28, v3
	v_add_co_ci_u32_e32 v4, vcc_lo, s29, v4, vcc_lo
	global_store_b64 v[3:4], v[23:24], off
	s_or_b32 exec_lo, exec_lo, s6
	s_and_saveexec_b32 s6, s9
	s_cbranch_execz .LBB0_8
.LBB0_55:                               ;   in Loop: Header=BB0_9 Depth=1
	v_lshlrev_b64 v[3:4], 3, v[13:14]
	s_delay_alu instid0(VALU_DEP_1) | instskip(NEXT) | instid1(VALU_DEP_2)
	v_add_co_u32 v3, vcc_lo, s28, v3
	v_add_co_ci_u32_e32 v4, vcc_lo, s29, v4, vcc_lo
	global_store_b64 v[3:4], v[27:28], off
	s_branch .LBB0_8
.LBB0_56:                               ;   in Loop: Header=BB0_9 Depth=1
	v_lshlrev_b64 v[29:30], 3, v[3:4]
	s_delay_alu instid0(VALU_DEP_1) | instskip(NEXT) | instid1(VALU_DEP_2)
	v_add_co_u32 v29, vcc_lo, s26, v29
	v_add_co_ci_u32_e32 v30, vcc_lo, s27, v30, vcc_lo
	global_store_b64 v[29:30], v[9:10], off
	s_or_b32 exec_lo, exec_lo, s21
	s_and_saveexec_b32 s21, s7
	s_cbranch_execz .LBB0_42
.LBB0_57:                               ;   in Loop: Header=BB0_9 Depth=1
	v_lshlrev_b64 v[9:10], 3, v[5:6]
	s_delay_alu instid0(VALU_DEP_1) | instskip(NEXT) | instid1(VALU_DEP_2)
	v_add_co_u32 v9, vcc_lo, s26, v9
	v_add_co_ci_u32_e32 v10, vcc_lo, s27, v10, vcc_lo
	global_store_b64 v[9:10], v[11:12], off
	s_or_b32 exec_lo, exec_lo, s21
	s_and_saveexec_b32 s21, s8
	s_cbranch_execz .LBB0_43
.LBB0_58:                               ;   in Loop: Header=BB0_9 Depth=1
	v_lshlrev_b64 v[9:10], 3, v[7:8]
	s_delay_alu instid0(VALU_DEP_1) | instskip(NEXT) | instid1(VALU_DEP_2)
	v_add_co_u32 v9, vcc_lo, s26, v9
	v_add_co_ci_u32_e32 v10, vcc_lo, s27, v10, vcc_lo
	global_store_b64 v[9:10], v[15:16], off
	s_or_b32 exec_lo, exec_lo, s21
	s_and_saveexec_b32 s21, s9
	s_cbranch_execnz .LBB0_44
	s_branch .LBB0_45
.LBB0_59:
	s_mov_b32 s5, 0
.LBB0_60:
	s_delay_alu instid0(SALU_CYCLE_1)
	s_and_not1_b32 vcc_lo, exec_lo, s5
	s_cbranch_vccnz .LBB0_74
; %bb.61:
	v_dual_mov_b32 v28, 0 :: v_dual_lshlrev_b32 v27, 2, v0
	s_mov_b32 s6, 0
	s_mov_b32 s5, exec_lo
	s_delay_alu instid0(VALU_DEP_1)
	v_cmpx_gt_i64_e64 s[10:11], v[27:28]
	s_cbranch_execz .LBB0_74
; %bb.62:
	v_cmp_neq_f64_e64 s5, s[16:17], 0
	v_add_f64 v[29:30], -s[12:13], 1.0
	s_load_b32 s0, s[0:1], 0xc9c
	v_mov_b32_e32 v1, v28
	s_cmp_lg_u64 s[24:25], 0
	s_cselect_b32 s1, -1, 0
	s_waitcnt lgkmcnt(0)
	s_and_b32 s7, s0, 0xffff
	s_branch .LBB0_64
.LBB0_63:                               ;   in Loop: Header=BB0_64 Depth=1
	v_add_nc_u32_e32 v27, s7, v0
	s_clause 0x1
	global_store_b128 v[31:32], v[21:24], off
	global_store_b128 v[31:32], v[17:20], off offset:16
	v_lshlrev_b64 v[0:1], 2, v[27:28]
	v_cmp_lt_u32_e64 s0, 0x3fff, v27
	s_delay_alu instid0(VALU_DEP_2) | instskip(SKIP_1) | instid1(VALU_DEP_3)
	v_cmp_le_u64_e32 vcc_lo, s[10:11], v[0:1]
	v_dual_mov_b32 v0, v27 :: v_dual_mov_b32 v1, v28
	s_or_b32 s0, s0, vcc_lo
	s_delay_alu instid0(SALU_CYCLE_1) | instskip(NEXT) | instid1(SALU_CYCLE_1)
	s_and_b32 s0, exec_lo, s0
	s_or_b32 s6, s0, s6
	s_delay_alu instid0(SALU_CYCLE_1)
	s_and_not1_b32 exec_lo, exec_lo, s6
	s_cbranch_execz .LBB0_74
.LBB0_64:                               ; =>This Inner Loop Header: Depth=1
	v_lshlrev_b64 v[1:2], 5, v[0:1]
	s_delay_alu instid0(VALU_DEP_1) | instskip(NEXT) | instid1(VALU_DEP_2)
	v_add_co_u32 v35, vcc_lo, s22, v1
	v_add_co_ci_u32_e32 v36, vcc_lo, s23, v2, vcc_lo
	v_add_co_u32 v33, vcc_lo, s26, v1
	v_add_co_ci_u32_e32 v34, vcc_lo, s27, v2, vcc_lo
	;; [unrolled: 2-line block ×3, first 2 shown]
	s_clause 0x1
	global_load_b128 v[9:12], v[35:36], off offset:16
	global_load_b128 v[13:16], v[35:36], off
	s_clause 0x1
	global_load_b128 v[1:4], v[33:34], off offset:16
	global_load_b128 v[5:8], v[33:34], off
	;; [unrolled: 3-line block ×3, first 2 shown]
	s_and_not1_b32 vcc_lo, exec_lo, s1
	s_cbranch_vccnz .LBB0_66
; %bb.65:                               ;   in Loop: Header=BB0_64 Depth=1
	global_load_b32 v27, v28, s[24:25]
	s_waitcnt vmcnt(0)
	v_cvt_f64_f32_e32 v[37:38], v27
	s_delay_alu instid0(VALU_DEP_1) | instskip(NEXT) | instid1(VALU_DEP_1)
	v_div_scale_f64 v[39:40], null, v[37:38], v[37:38], v[5:6]
	v_rcp_f64_e32 v[41:42], v[39:40]
	s_waitcnt_depctr 0xfff
	v_fma_f64 v[43:44], -v[39:40], v[41:42], 1.0
	s_delay_alu instid0(VALU_DEP_1) | instskip(NEXT) | instid1(VALU_DEP_1)
	v_fma_f64 v[41:42], v[41:42], v[43:44], v[41:42]
	v_fma_f64 v[43:44], -v[39:40], v[41:42], 1.0
	s_delay_alu instid0(VALU_DEP_1) | instskip(SKIP_1) | instid1(VALU_DEP_1)
	v_fma_f64 v[41:42], v[41:42], v[43:44], v[41:42]
	v_div_scale_f64 v[43:44], vcc_lo, v[5:6], v[37:38], v[5:6]
	v_mul_f64 v[45:46], v[43:44], v[41:42]
	s_delay_alu instid0(VALU_DEP_1) | instskip(NEXT) | instid1(VALU_DEP_1)
	v_fma_f64 v[39:40], -v[39:40], v[45:46], v[43:44]
	v_div_fmas_f64 v[39:40], v[39:40], v[41:42], v[45:46]
	s_delay_alu instid0(VALU_DEP_1)
	v_div_fixup_f64 v[5:6], v[39:40], v[37:38], v[5:6]
.LBB0_66:                               ;   in Loop: Header=BB0_64 Depth=1
	s_and_not1_b32 vcc_lo, exec_lo, s1
	s_cbranch_vccnz .LBB0_68
; %bb.67:                               ;   in Loop: Header=BB0_64 Depth=1
	global_load_b32 v27, v28, s[24:25]
	s_waitcnt vmcnt(0)
	v_cvt_f64_f32_e32 v[37:38], v27
	s_delay_alu instid0(VALU_DEP_1) | instskip(NEXT) | instid1(VALU_DEP_1)
	v_div_scale_f64 v[39:40], null, v[37:38], v[37:38], v[7:8]
	v_rcp_f64_e32 v[41:42], v[39:40]
	s_waitcnt_depctr 0xfff
	v_fma_f64 v[43:44], -v[39:40], v[41:42], 1.0
	s_delay_alu instid0(VALU_DEP_1) | instskip(NEXT) | instid1(VALU_DEP_1)
	v_fma_f64 v[41:42], v[41:42], v[43:44], v[41:42]
	v_fma_f64 v[43:44], -v[39:40], v[41:42], 1.0
	s_delay_alu instid0(VALU_DEP_1) | instskip(SKIP_1) | instid1(VALU_DEP_1)
	v_fma_f64 v[41:42], v[41:42], v[43:44], v[41:42]
	v_div_scale_f64 v[43:44], vcc_lo, v[7:8], v[37:38], v[7:8]
	v_mul_f64 v[45:46], v[43:44], v[41:42]
	s_delay_alu instid0(VALU_DEP_1) | instskip(NEXT) | instid1(VALU_DEP_1)
	v_fma_f64 v[39:40], -v[39:40], v[45:46], v[43:44]
	v_div_fmas_f64 v[39:40], v[39:40], v[41:42], v[45:46]
	s_delay_alu instid0(VALU_DEP_1)
	v_div_fixup_f64 v[7:8], v[39:40], v[37:38], v[7:8]
.LBB0_68:                               ;   in Loop: Header=BB0_64 Depth=1
	;; [unrolled: 24-line block ×4, first 2 shown]
	s_waitcnt vmcnt(3)
	s_delay_alu instid0(VALU_DEP_1) | instskip(SKIP_1) | instid1(VALU_DEP_2)
	v_xor_b32_e32 v27, 0x80000000, v2
	s_waitcnt vmcnt(2)
	v_xor_b32_e32 v40, 0x80000000, v8
	s_delay_alu instid0(VALU_DEP_3) | instskip(NEXT) | instid1(VALU_DEP_4)
	v_xor_b32_e32 v42, 0x80000000, v6
	v_cndmask_b32_e64 v39, v7, v7, s3
	v_cndmask_b32_e64 v41, v5, v5, s3
	;; [unrolled: 1-line block ×3, first 2 shown]
	v_xor_b32_e32 v27, 0x80000000, v4
	v_cndmask_b32_e64 v40, v8, v40, s3
	v_cndmask_b32_e64 v42, v6, v42, s3
	;; [unrolled: 1-line block ×5, first 2 shown]
	v_fma_f64 v[47:48], v[15:16], s[16:17], v[39:40]
	v_fma_f64 v[49:50], v[13:14], s[16:17], v[41:42]
	;; [unrolled: 1-line block ×3, first 2 shown]
	s_and_not1_b32 vcc_lo, exec_lo, s1
	v_fma_f64 v[51:52], v[11:12], s[16:17], v[45:46]
	s_delay_alu instid0(VALU_DEP_4)
	v_cndmask_b32_e64 v40, v40, v48, s5
	v_cndmask_b32_e64 v39, v39, v47, s5
	v_cndmask_b32_e64 v42, v42, v50, s5
	v_cndmask_b32_e64 v41, v41, v49, s5
	v_cndmask_b32_e64 v38, v38, v44, s5
	v_cndmask_b32_e64 v37, v37, v43, s5
	v_cndmask_b32_e64 v44, v46, v52, s5
	v_cndmask_b32_e64 v43, v45, v51, s5
	v_mul_f64 v[48:49], v[29:30], v[39:40]
	v_mul_f64 v[50:51], v[29:30], v[41:42]
	v_mul_f64 v[46:47], v[29:30], v[37:38]
	s_delay_alu instid0(VALU_DEP_4) | instskip(SKIP_1) | instid1(VALU_DEP_4)
	v_mul_f64 v[52:53], v[29:30], v[43:44]
	s_waitcnt vmcnt(0)
	v_fma_f64 v[23:24], v[23:24], s[18:19], v[48:49]
	s_delay_alu instid0(VALU_DEP_4) | instskip(NEXT) | instid1(VALU_DEP_4)
	v_fma_f64 v[21:22], v[21:22], s[18:19], v[50:51]
	v_fma_f64 v[17:18], v[17:18], s[18:19], v[46:47]
	s_delay_alu instid0(VALU_DEP_4) | instskip(NEXT) | instid1(VALU_DEP_4)
	v_fma_f64 v[19:20], v[19:20], s[18:19], v[52:53]
	v_cndmask_b32_e64 v24, v24, v40, s4
	v_cndmask_b32_e64 v23, v23, v39, s4
	;; [unrolled: 1-line block ×8, first 2 shown]
	v_fma_f64 v[39:40], v[23:24], s[18:19], v[39:40]
	v_fma_f64 v[41:42], v[21:22], s[18:19], v[41:42]
	v_fma_f64 v[37:38], v[17:18], s[18:19], v[37:38]
	s_delay_alu instid0(VALU_DEP_4) | instskip(NEXT) | instid1(VALU_DEP_4)
	v_fma_f64 v[43:44], v[19:20], s[18:19], v[43:44]
	v_cndmask_b32_e64 v40, v24, v40, s2
	v_cndmask_b32_e64 v39, v23, v39, s2
	;; [unrolled: 1-line block ×8, first 2 shown]
	v_fma_f64 v[15:16], -v[25:26], v[39:40], v[15:16]
	v_fma_f64 v[13:14], -v[25:26], v[41:42], v[13:14]
	v_fma_f64 v[9:10], -v[25:26], v[37:38], v[9:10]
	s_delay_alu instid0(VALU_DEP_4)
	v_fma_f64 v[11:12], -v[25:26], v[43:44], v[11:12]
	s_clause 0x1
	global_store_b128 v[35:36], v[13:16], off
	global_store_b128 v[35:36], v[9:12], off offset:16
	s_cbranch_vccnz .LBB0_63
; %bb.73:                               ;   in Loop: Header=BB0_64 Depth=1
	s_clause 0x1
	global_store_b128 v[33:34], v[5:8], off
	global_store_b128 v[33:34], v[1:4], off offset:16
	s_branch .LBB0_63
.LBB0_74:
	s_nop 0
	s_sendmsg sendmsg(MSG_DEALLOC_VGPRS)
	s_endpgm
	.section	.rodata,"a",@progbits
	.p2align	6, 0x0
	.amdhsa_kernel _ZN2at6native12_GLOBAL__N_125multi_tensor_apply_kernelINS1_18TensorListMetadataILi3EEENS1_19FusedSgdMathFunctorIdLi3EEEJddPfddbbbS7_S7_EEEvT_T0_DpT1_
		.amdhsa_group_segment_fixed_size 0
		.amdhsa_private_segment_fixed_size 0
		.amdhsa_kernarg_size 3472
		.amdhsa_user_sgpr_count 15
		.amdhsa_user_sgpr_dispatch_ptr 0
		.amdhsa_user_sgpr_queue_ptr 0
		.amdhsa_user_sgpr_kernarg_segment_ptr 1
		.amdhsa_user_sgpr_dispatch_id 0
		.amdhsa_user_sgpr_private_segment_size 0
		.amdhsa_wavefront_size32 1
		.amdhsa_uses_dynamic_stack 0
		.amdhsa_enable_private_segment 0
		.amdhsa_system_sgpr_workgroup_id_x 1
		.amdhsa_system_sgpr_workgroup_id_y 0
		.amdhsa_system_sgpr_workgroup_id_z 0
		.amdhsa_system_sgpr_workgroup_info 0
		.amdhsa_system_vgpr_workitem_id 0
		.amdhsa_next_free_vgpr 54
		.amdhsa_next_free_sgpr 36
		.amdhsa_reserve_vcc 1
		.amdhsa_float_round_mode_32 0
		.amdhsa_float_round_mode_16_64 0
		.amdhsa_float_denorm_mode_32 3
		.amdhsa_float_denorm_mode_16_64 3
		.amdhsa_dx10_clamp 1
		.amdhsa_ieee_mode 1
		.amdhsa_fp16_overflow 0
		.amdhsa_workgroup_processor_mode 1
		.amdhsa_memory_ordered 1
		.amdhsa_forward_progress 0
		.amdhsa_shared_vgpr_count 0
		.amdhsa_exception_fp_ieee_invalid_op 0
		.amdhsa_exception_fp_denorm_src 0
		.amdhsa_exception_fp_ieee_div_zero 0
		.amdhsa_exception_fp_ieee_overflow 0
		.amdhsa_exception_fp_ieee_underflow 0
		.amdhsa_exception_fp_ieee_inexact 0
		.amdhsa_exception_int_div_zero 0
	.end_amdhsa_kernel
	.section	.text._ZN2at6native12_GLOBAL__N_125multi_tensor_apply_kernelINS1_18TensorListMetadataILi3EEENS1_19FusedSgdMathFunctorIdLi3EEEJddPfddbbbS7_S7_EEEvT_T0_DpT1_,"axG",@progbits,_ZN2at6native12_GLOBAL__N_125multi_tensor_apply_kernelINS1_18TensorListMetadataILi3EEENS1_19FusedSgdMathFunctorIdLi3EEEJddPfddbbbS7_S7_EEEvT_T0_DpT1_,comdat
.Lfunc_end0:
	.size	_ZN2at6native12_GLOBAL__N_125multi_tensor_apply_kernelINS1_18TensorListMetadataILi3EEENS1_19FusedSgdMathFunctorIdLi3EEEJddPfddbbbS7_S7_EEEvT_T0_DpT1_, .Lfunc_end0-_ZN2at6native12_GLOBAL__N_125multi_tensor_apply_kernelINS1_18TensorListMetadataILi3EEENS1_19FusedSgdMathFunctorIdLi3EEEJddPfddbbbS7_S7_EEEvT_T0_DpT1_
                                        ; -- End function
	.section	.AMDGPU.csdata,"",@progbits
; Kernel info:
; codeLenInByte = 4292
; NumSgprs: 38
; NumVgprs: 54
; ScratchSize: 0
; MemoryBound: 1
; FloatMode: 240
; IeeeMode: 1
; LDSByteSize: 0 bytes/workgroup (compile time only)
; SGPRBlocks: 4
; VGPRBlocks: 6
; NumSGPRsForWavesPerEU: 38
; NumVGPRsForWavesPerEU: 54
; Occupancy: 16
; WaveLimiterHint : 0
; COMPUTE_PGM_RSRC2:SCRATCH_EN: 0
; COMPUTE_PGM_RSRC2:USER_SGPR: 15
; COMPUTE_PGM_RSRC2:TRAP_HANDLER: 0
; COMPUTE_PGM_RSRC2:TGID_X_EN: 1
; COMPUTE_PGM_RSRC2:TGID_Y_EN: 0
; COMPUTE_PGM_RSRC2:TGID_Z_EN: 0
; COMPUTE_PGM_RSRC2:TIDIG_COMP_CNT: 0
	.section	.text._ZN2at6native12_GLOBAL__N_125multi_tensor_apply_kernelINS1_18TensorListMetadataILi3EEENS1_19FusedSgdMathFunctorIfLi3EEEJddPfddbbbS7_S7_EEEvT_T0_DpT1_,"axG",@progbits,_ZN2at6native12_GLOBAL__N_125multi_tensor_apply_kernelINS1_18TensorListMetadataILi3EEENS1_19FusedSgdMathFunctorIfLi3EEEJddPfddbbbS7_S7_EEEvT_T0_DpT1_,comdat
	.globl	_ZN2at6native12_GLOBAL__N_125multi_tensor_apply_kernelINS1_18TensorListMetadataILi3EEENS1_19FusedSgdMathFunctorIfLi3EEEJddPfddbbbS7_S7_EEEvT_T0_DpT1_ ; -- Begin function _ZN2at6native12_GLOBAL__N_125multi_tensor_apply_kernelINS1_18TensorListMetadataILi3EEENS1_19FusedSgdMathFunctorIfLi3EEEJddPfddbbbS7_S7_EEEvT_T0_DpT1_
	.p2align	8
	.type	_ZN2at6native12_GLOBAL__N_125multi_tensor_apply_kernelINS1_18TensorListMetadataILi3EEENS1_19FusedSgdMathFunctorIfLi3EEEJddPfddbbbS7_S7_EEEvT_T0_DpT1_,@function
_ZN2at6native12_GLOBAL__N_125multi_tensor_apply_kernelINS1_18TensorListMetadataILi3EEENS1_19FusedSgdMathFunctorIfLi3EEEJddPfddbbbS7_S7_EEEvT_T0_DpT1_: ; @_ZN2at6native12_GLOBAL__N_125multi_tensor_apply_kernelINS1_18TensorListMetadataILi3EEENS1_19FusedSgdMathFunctorIfLi3EEEJddPfddbbbS7_S7_EEEvT_T0_DpT1_
; %bb.0:
	s_load_b128 s[16:19], s[0:1], 0xc80
	s_waitcnt lgkmcnt(0)
	s_cmp_eq_u64 s[18:19], 0
	s_cselect_b32 s2, -1, 0
	s_delay_alu instid0(SALU_CYCLE_1)
	s_and_b32 vcc_lo, exec_lo, s2
	s_cbranch_vccnz .LBB1_2
; %bb.1:
	s_load_b32 s2, s[18:19], 0x0
	s_waitcnt lgkmcnt(0)
	v_cmp_neq_f32_e64 s2, s2, 1.0
.LBB1_2:
	s_delay_alu instid0(VALU_DEP_1)
	s_and_not1_b32 vcc_lo, exec_lo, s2
	s_cbranch_vccnz .LBB1_75
; %bb.3:
	v_mov_b32_e32 v1, s15
	s_add_u32 s2, s0, s15
	s_mul_hi_u32 s3, s15, 3
	s_mul_i32 s15, s15, 3
	s_addc_u32 s18, s1, 0
	global_load_u8 v1, v1, s[0:1] offset:1536
	s_clause 0x1
	s_load_b256 s[4:11], s[0:1], 0xc50
	s_load_b64 s[12:13], s[0:1], 0xc70
	s_add_u32 s2, s2, s15
	s_addc_u32 s3, s18, s3
	s_mov_b32 s15, 0
	s_waitcnt lgkmcnt(0)
	s_cmp_eq_u64 s[8:9], 0
	s_waitcnt vmcnt(0)
	v_readfirstlane_b32 s14, v1
	s_cbranch_scc1 .LBB1_76
; %bb.4:
	s_load_b32 s9, s[8:9], 0x0
	s_load_b32 s8, s[2:3], 0x740
	s_waitcnt lgkmcnt(0)
	v_mov_b32_e32 v21, s9
	s_and_not1_b32 vcc_lo, exec_lo, s15
	s_cbranch_vccnz .LBB1_6
.LBB1_5:
	v_cvt_f32_f64_e32 v21, s[10:11]
.LBB1_6:
	s_load_b32 s3, s[0:1], 0xc78
	v_cvt_f32_f64_e32 v22, s[4:5]
	v_cvt_f32_f64_e32 v23, s[6:7]
	v_cvt_f32_f64_e32 v9, s[12:13]
	s_waitcnt lgkmcnt(0)
	s_bitcmp1_b32 s3, 0
	s_cselect_b32 s2, -1, 0
	s_bitcmp1_b32 s3, 8
	s_cselect_b32 s18, -1, 0
	;; [unrolled: 2-line block ×3, first 2 shown]
	s_and_b32 s9, s14, 0xff
	s_delay_alu instid0(SALU_CYCLE_1)
	s_lshl_b32 s9, s9, 3
	s_clause 0x3
	s_load_b64 s[14:15], s[0:1], s9 offset:0x480
	s_load_b64 s[4:5], s[0:1], s9 offset:0x0
	;; [unrolled: 1-line block ×4, first 2 shown]
	s_ashr_i32 s9, s8, 31
	s_delay_alu instid0(SALU_CYCLE_1) | instskip(SKIP_4) | instid1(SALU_CYCLE_1)
	s_lshl_b64 s[10:11], s[8:9], 16
	s_waitcnt lgkmcnt(0)
	s_sub_u32 s10, s14, s10
	s_subb_u32 s11, s15, s11
	s_lshl_b64 s[22:23], s[8:9], 18
	s_add_u32 s9, s4, s22
	s_addc_u32 s19, s5, s23
	s_and_b32 s4, s9, 15
	s_add_u32 s20, s6, s22
	s_addc_u32 s21, s7, s23
	s_and_b32 s5, s20, 15
	;; [unrolled: 3-line block ×3, first 2 shown]
	s_and_b32 s7, s22, 15
	s_delay_alu instid0(SALU_CYCLE_1) | instskip(NEXT) | instid1(SALU_CYCLE_1)
	s_or_b32 s6, s6, s7
	s_or_b32 s5, s6, s5
	s_delay_alu instid0(SALU_CYCLE_1) | instskip(SKIP_1) | instid1(SALU_CYCLE_1)
	s_or_b32 s4, s5, s4
	s_mov_b32 s5, 0
	s_cmp_eq_u64 s[4:5], 0
	s_mov_b32 s4, -1
	s_cbranch_scc1 .LBB1_61
; %bb.7:
	v_cmp_lt_i64_e64 s4, s[10:11], 1
	s_delay_alu instid0(VALU_DEP_1)
	s_and_b32 vcc_lo, exec_lo, s4
	s_cbranch_vccnz .LBB1_60
; %bb.8:
	s_load_b32 s4, s[0:1], 0xc9c
	v_cmp_gt_i64_e64 s5, 0x10000, s[10:11]
	v_dual_mov_b32 v10, 0 :: v_dual_sub_f32 v11, 1.0, v9
	s_mov_b64 s[14:15], 0
	s_delay_alu instid0(VALU_DEP_2)
	s_and_b32 s5, s5, exec_lo
	s_cselect_b32 s13, s11, 0
	s_cselect_b32 s12, s10, 0x10000
	s_waitcnt lgkmcnt(0)
	s_and_b32 s24, s4, 0xffff
	v_cmp_neq_f32_e64 s4, 0, v22
	s_lshl_b32 s25, s24, 1
	s_cmp_lg_u64 s[16:17], 0
	s_mul_i32 s27, s24, 3
	s_cselect_b32 s26, -1, 0
	s_lshl_b32 s28, s24, 2
	s_branch .LBB1_10
.LBB1_9:                                ;   in Loop: Header=BB1_10 Depth=1
	s_or_b32 exec_lo, exec_lo, s5
	s_add_i32 s14, s14, s28
	s_delay_alu instid0(SALU_CYCLE_1) | instskip(NEXT) | instid1(SALU_CYCLE_1)
	s_ashr_i32 s15, s14, 31
	v_cmp_lt_i64_e64 s5, s[14:15], s[12:13]
	s_delay_alu instid0(VALU_DEP_1)
	s_and_b32 vcc_lo, exec_lo, s5
	s_cbranch_vccz .LBB1_60
.LBB1_10:                               ; =>This Inner Loop Header: Depth=1
	v_add_co_u32 v1, s5, s14, v0
	s_delay_alu instid0(VALU_DEP_1) | instskip(SKIP_1) | instid1(VALU_DEP_2)
	v_add_co_ci_u32_e64 v2, null, s15, 0, s5
	v_dual_mov_b32 v15, 0 :: v_dual_mov_b32 v12, 0
	v_cmp_gt_i64_e64 s5, s[12:13], v[1:2]
	s_delay_alu instid0(VALU_DEP_1)
	s_and_saveexec_b32 s6, s5
	s_cbranch_execz .LBB1_12
; %bb.11:                               ;   in Loop: Header=BB1_10 Depth=1
	v_lshlrev_b64 v[3:4], 2, v[1:2]
	s_delay_alu instid0(VALU_DEP_1) | instskip(NEXT) | instid1(VALU_DEP_2)
	v_add_co_u32 v5, vcc_lo, s9, v3
	v_add_co_ci_u32_e32 v6, vcc_lo, s19, v4, vcc_lo
	v_add_co_u32 v3, vcc_lo, s20, v3
	v_add_co_ci_u32_e32 v4, vcc_lo, s21, v4, vcc_lo
	global_load_b32 v15, v[5:6], off
	global_load_b32 v12, v[3:4], off
.LBB1_12:                               ;   in Loop: Header=BB1_10 Depth=1
	s_or_b32 exec_lo, exec_lo, s6
	v_dual_mov_b32 v16, 0 :: v_dual_mov_b32 v19, 0
	s_and_saveexec_b32 s6, s5
	s_cbranch_execz .LBB1_14
; %bb.13:                               ;   in Loop: Header=BB1_10 Depth=1
	v_lshlrev_b64 v[3:4], 2, v[1:2]
	s_delay_alu instid0(VALU_DEP_1) | instskip(NEXT) | instid1(VALU_DEP_2)
	v_add_co_u32 v3, vcc_lo, s22, v3
	v_add_co_ci_u32_e32 v4, vcc_lo, s23, v4, vcc_lo
	global_load_b32 v19, v[3:4], off
.LBB1_14:                               ;   in Loop: Header=BB1_10 Depth=1
	s_or_b32 exec_lo, exec_lo, s6
	v_add_co_u32 v3, vcc_lo, v1, s24
	v_add_co_ci_u32_e32 v4, vcc_lo, 0, v2, vcc_lo
	v_mov_b32_e32 v13, 0
	s_delay_alu instid0(VALU_DEP_2) | instskip(NEXT) | instid1(VALU_DEP_1)
	v_cmp_gt_i64_e64 s6, s[12:13], v[3:4]
	s_and_saveexec_b32 s7, s6
	s_cbranch_execz .LBB1_16
; %bb.15:                               ;   in Loop: Header=BB1_10 Depth=1
	v_lshlrev_b64 v[5:6], 2, v[3:4]
	s_delay_alu instid0(VALU_DEP_1) | instskip(NEXT) | instid1(VALU_DEP_2)
	v_add_co_u32 v7, vcc_lo, s9, v5
	v_add_co_ci_u32_e32 v8, vcc_lo, s19, v6, vcc_lo
	v_add_co_u32 v5, vcc_lo, s20, v5
	v_add_co_ci_u32_e32 v6, vcc_lo, s21, v6, vcc_lo
	global_load_b32 v16, v[7:8], off
	global_load_b32 v13, v[5:6], off
.LBB1_16:                               ;   in Loop: Header=BB1_10 Depth=1
	s_or_b32 exec_lo, exec_lo, s7
	v_mov_b32_e32 v18, 0
	v_mov_b32_e32 v24, 0
	s_and_saveexec_b32 s7, s6
	s_cbranch_execz .LBB1_18
; %bb.17:                               ;   in Loop: Header=BB1_10 Depth=1
	v_lshlrev_b64 v[5:6], 2, v[3:4]
	s_delay_alu instid0(VALU_DEP_1) | instskip(NEXT) | instid1(VALU_DEP_2)
	v_add_co_u32 v5, vcc_lo, s22, v5
	v_add_co_ci_u32_e32 v6, vcc_lo, s23, v6, vcc_lo
	global_load_b32 v24, v[5:6], off
.LBB1_18:                               ;   in Loop: Header=BB1_10 Depth=1
	s_or_b32 exec_lo, exec_lo, s7
	v_add_co_u32 v5, vcc_lo, v1, s25
	v_add_co_ci_u32_e32 v6, vcc_lo, 0, v2, vcc_lo
	v_mov_b32_e32 v14, 0
	s_delay_alu instid0(VALU_DEP_2) | instskip(NEXT) | instid1(VALU_DEP_1)
	v_cmp_gt_i64_e64 s7, s[12:13], v[5:6]
	s_and_saveexec_b32 s8, s7
	s_cbranch_execz .LBB1_20
; %bb.19:                               ;   in Loop: Header=BB1_10 Depth=1
	v_lshlrev_b64 v[7:8], 2, v[5:6]
	s_delay_alu instid0(VALU_DEP_1) | instskip(NEXT) | instid1(VALU_DEP_2)
	v_add_co_u32 v17, vcc_lo, s9, v7
	v_add_co_ci_u32_e32 v18, vcc_lo, s19, v8, vcc_lo
	v_add_co_u32 v7, vcc_lo, s20, v7
	v_add_co_ci_u32_e32 v8, vcc_lo, s21, v8, vcc_lo
	global_load_b32 v18, v[17:18], off
	global_load_b32 v14, v[7:8], off
.LBB1_20:                               ;   in Loop: Header=BB1_10 Depth=1
	s_or_b32 exec_lo, exec_lo, s8
	v_dual_mov_b32 v20, 0 :: v_dual_mov_b32 v25, 0
	s_and_saveexec_b32 s8, s7
	s_cbranch_execz .LBB1_22
; %bb.21:                               ;   in Loop: Header=BB1_10 Depth=1
	v_lshlrev_b64 v[7:8], 2, v[5:6]
	s_delay_alu instid0(VALU_DEP_1) | instskip(NEXT) | instid1(VALU_DEP_2)
	v_add_co_u32 v7, vcc_lo, s22, v7
	v_add_co_ci_u32_e32 v8, vcc_lo, s23, v8, vcc_lo
	global_load_b32 v25, v[7:8], off
.LBB1_22:                               ;   in Loop: Header=BB1_10 Depth=1
	s_or_b32 exec_lo, exec_lo, s8
	v_add_co_u32 v7, vcc_lo, v1, s27
	v_add_co_ci_u32_e32 v8, vcc_lo, 0, v2, vcc_lo
	v_mov_b32_e32 v17, 0
	s_delay_alu instid0(VALU_DEP_2) | instskip(NEXT) | instid1(VALU_DEP_1)
	v_cmp_gt_i64_e64 s8, s[12:13], v[7:8]
	s_and_saveexec_b32 s15, s8
	s_cbranch_execnz .LBB1_51
; %bb.23:                               ;   in Loop: Header=BB1_10 Depth=1
	s_or_b32 exec_lo, exec_lo, s15
	v_mov_b32_e32 v26, 0
	s_and_saveexec_b32 s15, s8
	s_cbranch_execnz .LBB1_52
.LBB1_24:                               ;   in Loop: Header=BB1_10 Depth=1
	s_or_b32 exec_lo, exec_lo, s15
	s_delay_alu instid0(SALU_CYCLE_1)
	s_and_not1_b32 vcc_lo, exec_lo, s26
	s_cbranch_vccnz .LBB1_26
.LBB1_25:                               ;   in Loop: Header=BB1_10 Depth=1
	global_load_b32 v27, v10, s[16:17]
	s_waitcnt vmcnt(0)
	v_div_scale_f32 v28, null, v27, v27, v12
	s_delay_alu instid0(VALU_DEP_1) | instskip(SKIP_2) | instid1(VALU_DEP_1)
	v_rcp_f32_e32 v29, v28
	s_waitcnt_depctr 0xfff
	v_fma_f32 v30, -v28, v29, 1.0
	v_fmac_f32_e32 v29, v30, v29
	v_div_scale_f32 v30, vcc_lo, v12, v27, v12
	s_delay_alu instid0(VALU_DEP_1) | instskip(NEXT) | instid1(VALU_DEP_1)
	v_mul_f32_e32 v31, v30, v29
	v_fma_f32 v32, -v28, v31, v30
	s_delay_alu instid0(VALU_DEP_1) | instskip(NEXT) | instid1(VALU_DEP_1)
	v_fmac_f32_e32 v31, v32, v29
	v_fma_f32 v28, -v28, v31, v30
	s_delay_alu instid0(VALU_DEP_1) | instskip(NEXT) | instid1(VALU_DEP_1)
	v_div_fmas_f32 v28, v28, v29, v31
	v_div_fixup_f32 v12, v28, v27, v12
.LBB1_26:                               ;   in Loop: Header=BB1_10 Depth=1
	s_and_not1_b32 vcc_lo, exec_lo, s26
	s_cbranch_vccnz .LBB1_28
; %bb.27:                               ;   in Loop: Header=BB1_10 Depth=1
	global_load_b32 v27, v10, s[16:17]
	s_waitcnt vmcnt(0)
	v_div_scale_f32 v28, null, v27, v27, v13
	s_delay_alu instid0(VALU_DEP_1) | instskip(SKIP_2) | instid1(VALU_DEP_1)
	v_rcp_f32_e32 v29, v28
	s_waitcnt_depctr 0xfff
	v_fma_f32 v30, -v28, v29, 1.0
	v_fmac_f32_e32 v29, v30, v29
	v_div_scale_f32 v30, vcc_lo, v13, v27, v13
	s_delay_alu instid0(VALU_DEP_1) | instskip(NEXT) | instid1(VALU_DEP_1)
	v_mul_f32_e32 v31, v30, v29
	v_fma_f32 v32, -v28, v31, v30
	s_delay_alu instid0(VALU_DEP_1) | instskip(NEXT) | instid1(VALU_DEP_1)
	v_fmac_f32_e32 v31, v32, v29
	v_fma_f32 v28, -v28, v31, v30
	s_delay_alu instid0(VALU_DEP_1) | instskip(NEXT) | instid1(VALU_DEP_1)
	v_div_fmas_f32 v28, v28, v29, v31
	v_div_fixup_f32 v13, v28, v27, v13
.LBB1_28:                               ;   in Loop: Header=BB1_10 Depth=1
	s_and_not1_b32 vcc_lo, exec_lo, s26
	s_cbranch_vccnz .LBB1_30
; %bb.29:                               ;   in Loop: Header=BB1_10 Depth=1
	global_load_b32 v27, v10, s[16:17]
	s_waitcnt vmcnt(0)
	v_div_scale_f32 v28, null, v27, v27, v14
	s_delay_alu instid0(VALU_DEP_1) | instskip(SKIP_2) | instid1(VALU_DEP_1)
	v_rcp_f32_e32 v29, v28
	s_waitcnt_depctr 0xfff
	v_fma_f32 v30, -v28, v29, 1.0
	v_fmac_f32_e32 v29, v30, v29
	v_div_scale_f32 v30, vcc_lo, v14, v27, v14
	s_delay_alu instid0(VALU_DEP_1) | instskip(NEXT) | instid1(VALU_DEP_1)
	v_mul_f32_e32 v31, v30, v29
	v_fma_f32 v32, -v28, v31, v30
	s_delay_alu instid0(VALU_DEP_1) | instskip(NEXT) | instid1(VALU_DEP_1)
	v_fmac_f32_e32 v31, v32, v29
	v_fma_f32 v28, -v28, v31, v30
	s_delay_alu instid0(VALU_DEP_1) | instskip(NEXT) | instid1(VALU_DEP_1)
	v_div_fmas_f32 v28, v28, v29, v31
	v_div_fixup_f32 v14, v28, v27, v14
.LBB1_30:                               ;   in Loop: Header=BB1_10 Depth=1
	;; [unrolled: 22-line block ×3, first 2 shown]
	s_waitcnt vmcnt(0)
	v_cndmask_b32_e64 v27, v12, -v12, s18
	s_delay_alu instid0(VALU_DEP_1) | instskip(NEXT) | instid1(VALU_DEP_1)
	v_fma_f32 v28, v15, v22, v27
	v_cndmask_b32_e64 v27, v27, v28, s4
	s_delay_alu instid0(VALU_DEP_1) | instskip(NEXT) | instid1(VALU_DEP_1)
	v_mul_f32_e32 v28, v11, v27
	v_fmac_f32_e32 v28, v19, v23
	s_delay_alu instid0(VALU_DEP_1)
	v_cndmask_b32_e64 v19, v28, v27, s3
	s_and_saveexec_b32 s15, s5
	s_cbranch_execz .LBB1_34
; %bb.33:                               ;   in Loop: Header=BB1_10 Depth=1
	s_delay_alu instid0(VALU_DEP_1) | instskip(NEXT) | instid1(VALU_DEP_1)
	v_fmac_f32_e32 v27, v19, v23
	v_cndmask_b32_e64 v29, v19, v27, s2
	v_lshlrev_b64 v[27:28], 2, v[1:2]
	s_delay_alu instid0(VALU_DEP_2) | instskip(NEXT) | instid1(VALU_DEP_2)
	v_fma_f32 v15, -v21, v29, v15
	v_add_co_u32 v27, vcc_lo, s9, v27
	s_delay_alu instid0(VALU_DEP_3)
	v_add_co_ci_u32_e32 v28, vcc_lo, s19, v28, vcc_lo
	global_store_b32 v[27:28], v15, off
.LBB1_34:                               ;   in Loop: Header=BB1_10 Depth=1
	s_or_b32 exec_lo, exec_lo, s15
	v_cndmask_b32_e64 v15, v13, -v13, s18
	s_delay_alu instid0(VALU_DEP_1) | instskip(NEXT) | instid1(VALU_DEP_1)
	v_fma_f32 v27, v16, v22, v15
	v_cndmask_b32_e64 v27, v15, v27, s4
	s_delay_alu instid0(VALU_DEP_1) | instskip(NEXT) | instid1(VALU_DEP_1)
	v_mul_f32_e32 v15, v11, v27
	v_fmac_f32_e32 v15, v24, v23
	s_delay_alu instid0(VALU_DEP_1)
	v_cndmask_b32_e64 v15, v15, v27, s3
	s_and_saveexec_b32 s15, s6
	s_cbranch_execz .LBB1_36
; %bb.35:                               ;   in Loop: Header=BB1_10 Depth=1
	s_delay_alu instid0(VALU_DEP_1) | instskip(NEXT) | instid1(VALU_DEP_1)
	v_fmac_f32_e32 v27, v15, v23
	v_cndmask_b32_e64 v24, v15, v27, s2
	v_lshlrev_b64 v[27:28], 2, v[3:4]
	s_delay_alu instid0(VALU_DEP_2) | instskip(NEXT) | instid1(VALU_DEP_2)
	v_fma_f32 v16, -v21, v24, v16
	v_add_co_u32 v27, vcc_lo, s9, v27
	s_delay_alu instid0(VALU_DEP_3)
	v_add_co_ci_u32_e32 v28, vcc_lo, s19, v28, vcc_lo
	global_store_b32 v[27:28], v16, off
.LBB1_36:                               ;   in Loop: Header=BB1_10 Depth=1
	s_or_b32 exec_lo, exec_lo, s15
	;; [unrolled: 24-line block ×4, first 2 shown]
	s_delay_alu instid0(SALU_CYCLE_1)
	s_and_not1_b32 vcc_lo, exec_lo, s26
	s_cbranch_vccnz .LBB1_47
; %bb.41:                               ;   in Loop: Header=BB1_10 Depth=1
	s_and_saveexec_b32 s15, s5
	s_cbranch_execnz .LBB1_57
; %bb.42:                               ;   in Loop: Header=BB1_10 Depth=1
	s_or_b32 exec_lo, exec_lo, s15
	s_and_saveexec_b32 s15, s6
	s_cbranch_execnz .LBB1_58
.LBB1_43:                               ;   in Loop: Header=BB1_10 Depth=1
	s_or_b32 exec_lo, exec_lo, s15
	s_and_saveexec_b32 s15, s7
	s_cbranch_execnz .LBB1_59
.LBB1_44:                               ;   in Loop: Header=BB1_10 Depth=1
	s_or_b32 exec_lo, exec_lo, s15
	s_and_saveexec_b32 s15, s8
	s_cbranch_execz .LBB1_46
.LBB1_45:                               ;   in Loop: Header=BB1_10 Depth=1
	v_lshlrev_b64 v[12:13], 2, v[7:8]
	s_delay_alu instid0(VALU_DEP_1) | instskip(NEXT) | instid1(VALU_DEP_2)
	v_add_co_u32 v12, vcc_lo, s20, v12
	v_add_co_ci_u32_e32 v13, vcc_lo, s21, v13, vcc_lo
	global_store_b32 v[12:13], v17, off
.LBB1_46:                               ;   in Loop: Header=BB1_10 Depth=1
	s_or_b32 exec_lo, exec_lo, s15
.LBB1_47:                               ;   in Loop: Header=BB1_10 Depth=1
	s_and_saveexec_b32 s15, s5
	s_cbranch_execnz .LBB1_53
; %bb.48:                               ;   in Loop: Header=BB1_10 Depth=1
	s_or_b32 exec_lo, exec_lo, s15
	s_and_saveexec_b32 s5, s6
	s_cbranch_execnz .LBB1_54
.LBB1_49:                               ;   in Loop: Header=BB1_10 Depth=1
	s_or_b32 exec_lo, exec_lo, s5
	s_and_saveexec_b32 s5, s7
	s_cbranch_execnz .LBB1_55
.LBB1_50:                               ;   in Loop: Header=BB1_10 Depth=1
	s_or_b32 exec_lo, exec_lo, s5
	s_and_saveexec_b32 s5, s8
	s_cbranch_execz .LBB1_9
	s_branch .LBB1_56
.LBB1_51:                               ;   in Loop: Header=BB1_10 Depth=1
	v_lshlrev_b64 v[26:27], 2, v[7:8]
	s_delay_alu instid0(VALU_DEP_1) | instskip(NEXT) | instid1(VALU_DEP_2)
	v_add_co_u32 v28, vcc_lo, s9, v26
	v_add_co_ci_u32_e32 v29, vcc_lo, s19, v27, vcc_lo
	v_add_co_u32 v26, vcc_lo, s20, v26
	v_add_co_ci_u32_e32 v27, vcc_lo, s21, v27, vcc_lo
	global_load_b32 v20, v[28:29], off
	global_load_b32 v17, v[26:27], off
	s_or_b32 exec_lo, exec_lo, s15
	v_mov_b32_e32 v26, 0
	s_and_saveexec_b32 s15, s8
	s_cbranch_execz .LBB1_24
.LBB1_52:                               ;   in Loop: Header=BB1_10 Depth=1
	v_lshlrev_b64 v[26:27], 2, v[7:8]
	s_delay_alu instid0(VALU_DEP_1) | instskip(NEXT) | instid1(VALU_DEP_2)
	v_add_co_u32 v26, vcc_lo, s22, v26
	v_add_co_ci_u32_e32 v27, vcc_lo, s23, v27, vcc_lo
	global_load_b32 v26, v[26:27], off
	s_or_b32 exec_lo, exec_lo, s15
	s_delay_alu instid0(SALU_CYCLE_1)
	s_and_not1_b32 vcc_lo, exec_lo, s26
	s_cbranch_vccz .LBB1_25
	s_branch .LBB1_26
.LBB1_53:                               ;   in Loop: Header=BB1_10 Depth=1
	v_lshlrev_b64 v[1:2], 2, v[1:2]
	s_delay_alu instid0(VALU_DEP_1) | instskip(NEXT) | instid1(VALU_DEP_2)
	v_add_co_u32 v1, vcc_lo, s22, v1
	v_add_co_ci_u32_e32 v2, vcc_lo, s23, v2, vcc_lo
	global_store_b32 v[1:2], v19, off
	s_or_b32 exec_lo, exec_lo, s15
	s_and_saveexec_b32 s5, s6
	s_cbranch_execz .LBB1_49
.LBB1_54:                               ;   in Loop: Header=BB1_10 Depth=1
	v_lshlrev_b64 v[1:2], 2, v[3:4]
	s_delay_alu instid0(VALU_DEP_1) | instskip(NEXT) | instid1(VALU_DEP_2)
	v_add_co_u32 v1, vcc_lo, s22, v1
	v_add_co_ci_u32_e32 v2, vcc_lo, s23, v2, vcc_lo
	global_store_b32 v[1:2], v15, off
	s_or_b32 exec_lo, exec_lo, s5
	s_and_saveexec_b32 s5, s7
	s_cbranch_execz .LBB1_50
.LBB1_55:                               ;   in Loop: Header=BB1_10 Depth=1
	v_lshlrev_b64 v[1:2], 2, v[5:6]
	s_delay_alu instid0(VALU_DEP_1) | instskip(NEXT) | instid1(VALU_DEP_2)
	v_add_co_u32 v1, vcc_lo, s22, v1
	v_add_co_ci_u32_e32 v2, vcc_lo, s23, v2, vcc_lo
	global_store_b32 v[1:2], v16, off
	s_or_b32 exec_lo, exec_lo, s5
	s_and_saveexec_b32 s5, s8
	s_cbranch_execz .LBB1_9
.LBB1_56:                               ;   in Loop: Header=BB1_10 Depth=1
	v_lshlrev_b64 v[1:2], 2, v[7:8]
	s_delay_alu instid0(VALU_DEP_1) | instskip(NEXT) | instid1(VALU_DEP_2)
	v_add_co_u32 v1, vcc_lo, s22, v1
	v_add_co_ci_u32_e32 v2, vcc_lo, s23, v2, vcc_lo
	global_store_b32 v[1:2], v18, off
	s_branch .LBB1_9
.LBB1_57:                               ;   in Loop: Header=BB1_10 Depth=1
	v_lshlrev_b64 v[24:25], 2, v[1:2]
	s_delay_alu instid0(VALU_DEP_1) | instskip(NEXT) | instid1(VALU_DEP_2)
	v_add_co_u32 v24, vcc_lo, s20, v24
	v_add_co_ci_u32_e32 v25, vcc_lo, s21, v25, vcc_lo
	global_store_b32 v[24:25], v12, off
	s_or_b32 exec_lo, exec_lo, s15
	s_and_saveexec_b32 s15, s6
	s_cbranch_execz .LBB1_43
.LBB1_58:                               ;   in Loop: Header=BB1_10 Depth=1
	v_lshlrev_b64 v[24:25], 2, v[3:4]
	s_delay_alu instid0(VALU_DEP_1) | instskip(NEXT) | instid1(VALU_DEP_2)
	v_add_co_u32 v24, vcc_lo, s20, v24
	v_add_co_ci_u32_e32 v25, vcc_lo, s21, v25, vcc_lo
	global_store_b32 v[24:25], v13, off
	s_or_b32 exec_lo, exec_lo, s15
	s_and_saveexec_b32 s15, s7
	s_cbranch_execz .LBB1_44
.LBB1_59:                               ;   in Loop: Header=BB1_10 Depth=1
	v_lshlrev_b64 v[12:13], 2, v[5:6]
	s_delay_alu instid0(VALU_DEP_1) | instskip(NEXT) | instid1(VALU_DEP_2)
	v_add_co_u32 v12, vcc_lo, s20, v12
	v_add_co_ci_u32_e32 v13, vcc_lo, s21, v13, vcc_lo
	global_store_b32 v[12:13], v14, off
	s_or_b32 exec_lo, exec_lo, s15
	s_and_saveexec_b32 s15, s8
	s_cbranch_execnz .LBB1_45
	s_branch .LBB1_46
.LBB1_60:
	s_mov_b32 s4, 0
.LBB1_61:
	s_delay_alu instid0(SALU_CYCLE_1)
	s_and_not1_b32 vcc_lo, exec_lo, s4
	s_cbranch_vccnz .LBB1_75
; %bb.62:
	v_dual_mov_b32 v14, 0 :: v_dual_lshlrev_b32 v13, 2, v0
	s_mov_b32 s4, 0
	s_mov_b32 s5, exec_lo
	s_delay_alu instid0(VALU_DEP_1)
	v_cmpx_gt_i64_e64 s[10:11], v[13:14]
	s_cbranch_execz .LBB1_75
; %bb.63:
	s_load_b32 s1, s[0:1], 0xc9c
	v_dual_mov_b32 v1, v14 :: v_dual_sub_f32 v24, 1.0, v9
	v_cmp_neq_f32_e64 s0, 0, v22
	s_cmp_lg_u64 s[16:17], 0
	s_cselect_b32 s5, -1, 0
	s_waitcnt lgkmcnt(0)
	s_and_b32 s6, s1, 0xffff
	s_branch .LBB1_65
.LBB1_64:                               ;   in Loop: Header=BB1_65 Depth=1
	v_add_nc_u32_e32 v13, s6, v0
	global_store_b128 v[15:16], v[9:12], off
	v_lshlrev_b64 v[0:1], 2, v[13:14]
	v_cmp_lt_u32_e64 s1, 0x3fff, v13
	s_delay_alu instid0(VALU_DEP_2) | instskip(SKIP_1) | instid1(VALU_DEP_3)
	v_cmp_le_u64_e32 vcc_lo, s[10:11], v[0:1]
	v_dual_mov_b32 v0, v13 :: v_dual_mov_b32 v1, v14
	s_or_b32 s1, s1, vcc_lo
	s_delay_alu instid0(SALU_CYCLE_1) | instskip(NEXT) | instid1(SALU_CYCLE_1)
	s_and_b32 s1, exec_lo, s1
	s_or_b32 s4, s1, s4
	s_delay_alu instid0(SALU_CYCLE_1)
	s_and_not1_b32 exec_lo, exec_lo, s4
	s_cbranch_execz .LBB1_75
.LBB1_65:                               ; =>This Inner Loop Header: Depth=1
	v_lshlrev_b64 v[1:2], 4, v[0:1]
	s_delay_alu instid0(VALU_DEP_1) | instskip(NEXT) | instid1(VALU_DEP_2)
	v_add_co_u32 v19, vcc_lo, s9, v1
	v_add_co_ci_u32_e32 v20, vcc_lo, s19, v2, vcc_lo
	v_add_co_u32 v17, vcc_lo, s20, v1
	v_add_co_ci_u32_e32 v18, vcc_lo, s21, v2, vcc_lo
	;; [unrolled: 2-line block ×3, first 2 shown]
	global_load_b128 v[5:8], v[19:20], off
	global_load_b128 v[1:4], v[17:18], off
	;; [unrolled: 1-line block ×3, first 2 shown]
	s_and_not1_b32 vcc_lo, exec_lo, s5
	s_cbranch_vccnz .LBB1_67
; %bb.66:                               ;   in Loop: Header=BB1_65 Depth=1
	global_load_b32 v13, v14, s[16:17]
	s_waitcnt vmcnt(0)
	v_div_scale_f32 v25, null, v13, v13, v1
	s_delay_alu instid0(VALU_DEP_1) | instskip(SKIP_2) | instid1(VALU_DEP_1)
	v_rcp_f32_e32 v26, v25
	s_waitcnt_depctr 0xfff
	v_fma_f32 v27, -v25, v26, 1.0
	v_fmac_f32_e32 v26, v27, v26
	v_div_scale_f32 v27, vcc_lo, v1, v13, v1
	s_delay_alu instid0(VALU_DEP_1) | instskip(NEXT) | instid1(VALU_DEP_1)
	v_mul_f32_e32 v28, v27, v26
	v_fma_f32 v29, -v25, v28, v27
	s_delay_alu instid0(VALU_DEP_1) | instskip(NEXT) | instid1(VALU_DEP_1)
	v_fmac_f32_e32 v28, v29, v26
	v_fma_f32 v25, -v25, v28, v27
	s_delay_alu instid0(VALU_DEP_1) | instskip(NEXT) | instid1(VALU_DEP_1)
	v_div_fmas_f32 v25, v25, v26, v28
	v_div_fixup_f32 v1, v25, v13, v1
.LBB1_67:                               ;   in Loop: Header=BB1_65 Depth=1
	s_and_not1_b32 vcc_lo, exec_lo, s5
	s_cbranch_vccnz .LBB1_69
; %bb.68:                               ;   in Loop: Header=BB1_65 Depth=1
	global_load_b32 v13, v14, s[16:17]
	s_waitcnt vmcnt(0)
	v_div_scale_f32 v25, null, v13, v13, v2
	s_delay_alu instid0(VALU_DEP_1) | instskip(SKIP_2) | instid1(VALU_DEP_1)
	v_rcp_f32_e32 v26, v25
	s_waitcnt_depctr 0xfff
	v_fma_f32 v27, -v25, v26, 1.0
	v_fmac_f32_e32 v26, v27, v26
	v_div_scale_f32 v27, vcc_lo, v2, v13, v2
	s_delay_alu instid0(VALU_DEP_1) | instskip(NEXT) | instid1(VALU_DEP_1)
	v_mul_f32_e32 v28, v27, v26
	v_fma_f32 v29, -v25, v28, v27
	s_delay_alu instid0(VALU_DEP_1) | instskip(NEXT) | instid1(VALU_DEP_1)
	v_fmac_f32_e32 v28, v29, v26
	v_fma_f32 v25, -v25, v28, v27
	s_delay_alu instid0(VALU_DEP_1) | instskip(NEXT) | instid1(VALU_DEP_1)
	v_div_fmas_f32 v25, v25, v26, v28
	v_div_fixup_f32 v2, v25, v13, v2
.LBB1_69:                               ;   in Loop: Header=BB1_65 Depth=1
	;; [unrolled: 22-line block ×4, first 2 shown]
	s_waitcnt vmcnt(1)
	s_delay_alu instid0(VALU_DEP_1)
	v_cndmask_b32_e64 v13, v3, -v3, s18
	v_cndmask_b32_e64 v25, v2, -v2, s18
	;; [unrolled: 1-line block ×4, first 2 shown]
	s_and_not1_b32 vcc_lo, exec_lo, s5
	v_fma_f32 v28, v7, v22, v13
	v_fma_f32 v29, v6, v22, v25
	;; [unrolled: 1-line block ×4, first 2 shown]
	s_delay_alu instid0(VALU_DEP_4) | instskip(NEXT) | instid1(VALU_DEP_4)
	v_cndmask_b32_e64 v13, v13, v28, s0
	v_cndmask_b32_e64 v25, v25, v29, s0
	s_delay_alu instid0(VALU_DEP_4) | instskip(NEXT) | instid1(VALU_DEP_4)
	v_cndmask_b32_e64 v26, v26, v30, s0
	v_cndmask_b32_e64 v27, v27, v31, s0
	s_delay_alu instid0(VALU_DEP_3) | instskip(SKIP_1) | instid1(VALU_DEP_3)
	v_mul_f32_e32 v29, v24, v25
	v_mul_f32_e32 v28, v24, v13
	;; [unrolled: 1-line block ×3, first 2 shown]
	s_waitcnt vmcnt(0)
	s_delay_alu instid0(VALU_DEP_3) | instskip(NEXT) | instid1(VALU_DEP_3)
	v_fmac_f32_e32 v29, v10, v23
	v_fmac_f32_e32 v28, v11, v23
	s_delay_alu instid0(VALU_DEP_3) | instskip(NEXT) | instid1(VALU_DEP_3)
	v_fmac_f32_e32 v31, v12, v23
	v_cndmask_b32_e64 v10, v29, v25, s3
	s_delay_alu instid0(VALU_DEP_3) | instskip(SKIP_1) | instid1(VALU_DEP_4)
	v_cndmask_b32_e64 v11, v28, v13, s3
	v_mul_f32_e32 v30, v24, v26
	v_cndmask_b32_e64 v12, v31, v27, s3
	s_delay_alu instid0(VALU_DEP_4) | instskip(NEXT) | instid1(VALU_DEP_4)
	v_fmac_f32_e32 v25, v10, v23
	v_fmac_f32_e32 v13, v11, v23
	s_delay_alu instid0(VALU_DEP_4) | instskip(NEXT) | instid1(VALU_DEP_4)
	v_fmac_f32_e32 v30, v9, v23
	v_fmac_f32_e32 v27, v12, v23
	s_delay_alu instid0(VALU_DEP_4) | instskip(NEXT) | instid1(VALU_DEP_4)
	v_cndmask_b32_e64 v25, v10, v25, s2
	v_cndmask_b32_e64 v13, v11, v13, s2
	s_delay_alu instid0(VALU_DEP_4) | instskip(NEXT) | instid1(VALU_DEP_4)
	v_cndmask_b32_e64 v9, v30, v26, s3
	v_cndmask_b32_e64 v27, v12, v27, s2
	s_delay_alu instid0(VALU_DEP_4) | instskip(NEXT) | instid1(VALU_DEP_4)
	v_fma_f32 v6, -v21, v25, v6
	v_fma_f32 v7, -v21, v13, v7
	s_delay_alu instid0(VALU_DEP_4) | instskip(NEXT) | instid1(VALU_DEP_4)
	v_fmac_f32_e32 v26, v9, v23
	v_fma_f32 v8, -v21, v27, v8
	s_delay_alu instid0(VALU_DEP_2) | instskip(NEXT) | instid1(VALU_DEP_1)
	v_cndmask_b32_e64 v26, v9, v26, s2
	v_fma_f32 v5, -v21, v26, v5
	global_store_b128 v[19:20], v[5:8], off
	s_cbranch_vccnz .LBB1_64
; %bb.74:                               ;   in Loop: Header=BB1_65 Depth=1
	global_store_b128 v[17:18], v[1:4], off
	s_branch .LBB1_64
.LBB1_75:
	s_nop 0
	s_sendmsg sendmsg(MSG_DEALLOC_VGPRS)
	s_endpgm
.LBB1_76:
                                        ; implicit-def: $sgpr9
	s_load_b32 s8, s[2:3], 0x740
	v_mov_b32_e32 v21, s9
	s_branch .LBB1_5
	.section	.rodata,"a",@progbits
	.p2align	6, 0x0
	.amdhsa_kernel _ZN2at6native12_GLOBAL__N_125multi_tensor_apply_kernelINS1_18TensorListMetadataILi3EEENS1_19FusedSgdMathFunctorIfLi3EEEJddPfddbbbS7_S7_EEEvT_T0_DpT1_
		.amdhsa_group_segment_fixed_size 0
		.amdhsa_private_segment_fixed_size 0
		.amdhsa_kernarg_size 3472
		.amdhsa_user_sgpr_count 15
		.amdhsa_user_sgpr_dispatch_ptr 0
		.amdhsa_user_sgpr_queue_ptr 0
		.amdhsa_user_sgpr_kernarg_segment_ptr 1
		.amdhsa_user_sgpr_dispatch_id 0
		.amdhsa_user_sgpr_private_segment_size 0
		.amdhsa_wavefront_size32 1
		.amdhsa_uses_dynamic_stack 0
		.amdhsa_enable_private_segment 0
		.amdhsa_system_sgpr_workgroup_id_x 1
		.amdhsa_system_sgpr_workgroup_id_y 0
		.amdhsa_system_sgpr_workgroup_id_z 0
		.amdhsa_system_sgpr_workgroup_info 0
		.amdhsa_system_vgpr_workitem_id 0
		.amdhsa_next_free_vgpr 33
		.amdhsa_next_free_sgpr 29
		.amdhsa_reserve_vcc 1
		.amdhsa_float_round_mode_32 0
		.amdhsa_float_round_mode_16_64 0
		.amdhsa_float_denorm_mode_32 3
		.amdhsa_float_denorm_mode_16_64 3
		.amdhsa_dx10_clamp 1
		.amdhsa_ieee_mode 1
		.amdhsa_fp16_overflow 0
		.amdhsa_workgroup_processor_mode 1
		.amdhsa_memory_ordered 1
		.amdhsa_forward_progress 0
		.amdhsa_shared_vgpr_count 0
		.amdhsa_exception_fp_ieee_invalid_op 0
		.amdhsa_exception_fp_denorm_src 0
		.amdhsa_exception_fp_ieee_div_zero 0
		.amdhsa_exception_fp_ieee_overflow 0
		.amdhsa_exception_fp_ieee_underflow 0
		.amdhsa_exception_fp_ieee_inexact 0
		.amdhsa_exception_int_div_zero 0
	.end_amdhsa_kernel
	.section	.text._ZN2at6native12_GLOBAL__N_125multi_tensor_apply_kernelINS1_18TensorListMetadataILi3EEENS1_19FusedSgdMathFunctorIfLi3EEEJddPfddbbbS7_S7_EEEvT_T0_DpT1_,"axG",@progbits,_ZN2at6native12_GLOBAL__N_125multi_tensor_apply_kernelINS1_18TensorListMetadataILi3EEENS1_19FusedSgdMathFunctorIfLi3EEEJddPfddbbbS7_S7_EEEvT_T0_DpT1_,comdat
.Lfunc_end1:
	.size	_ZN2at6native12_GLOBAL__N_125multi_tensor_apply_kernelINS1_18TensorListMetadataILi3EEENS1_19FusedSgdMathFunctorIfLi3EEEJddPfddbbbS7_S7_EEEvT_T0_DpT1_, .Lfunc_end1-_ZN2at6native12_GLOBAL__N_125multi_tensor_apply_kernelINS1_18TensorListMetadataILi3EEENS1_19FusedSgdMathFunctorIfLi3EEEJddPfddbbbS7_S7_EEEvT_T0_DpT1_
                                        ; -- End function
	.section	.AMDGPU.csdata,"",@progbits
; Kernel info:
; codeLenInByte = 3604
; NumSgprs: 31
; NumVgprs: 33
; ScratchSize: 0
; MemoryBound: 0
; FloatMode: 240
; IeeeMode: 1
; LDSByteSize: 0 bytes/workgroup (compile time only)
; SGPRBlocks: 3
; VGPRBlocks: 4
; NumSGPRsForWavesPerEU: 31
; NumVGPRsForWavesPerEU: 33
; Occupancy: 16
; WaveLimiterHint : 0
; COMPUTE_PGM_RSRC2:SCRATCH_EN: 0
; COMPUTE_PGM_RSRC2:USER_SGPR: 15
; COMPUTE_PGM_RSRC2:TRAP_HANDLER: 0
; COMPUTE_PGM_RSRC2:TGID_X_EN: 1
; COMPUTE_PGM_RSRC2:TGID_Y_EN: 0
; COMPUTE_PGM_RSRC2:TGID_Z_EN: 0
; COMPUTE_PGM_RSRC2:TIDIG_COMP_CNT: 0
	.section	.text._ZN2at6native12_GLOBAL__N_125multi_tensor_apply_kernelINS1_18TensorListMetadataILi3EEENS1_19FusedSgdMathFunctorIN3c104HalfELi3EEEJddPfddbbbS9_S9_EEEvT_T0_DpT1_,"axG",@progbits,_ZN2at6native12_GLOBAL__N_125multi_tensor_apply_kernelINS1_18TensorListMetadataILi3EEENS1_19FusedSgdMathFunctorIN3c104HalfELi3EEEJddPfddbbbS9_S9_EEEvT_T0_DpT1_,comdat
	.globl	_ZN2at6native12_GLOBAL__N_125multi_tensor_apply_kernelINS1_18TensorListMetadataILi3EEENS1_19FusedSgdMathFunctorIN3c104HalfELi3EEEJddPfddbbbS9_S9_EEEvT_T0_DpT1_ ; -- Begin function _ZN2at6native12_GLOBAL__N_125multi_tensor_apply_kernelINS1_18TensorListMetadataILi3EEENS1_19FusedSgdMathFunctorIN3c104HalfELi3EEEJddPfddbbbS9_S9_EEEvT_T0_DpT1_
	.p2align	8
	.type	_ZN2at6native12_GLOBAL__N_125multi_tensor_apply_kernelINS1_18TensorListMetadataILi3EEENS1_19FusedSgdMathFunctorIN3c104HalfELi3EEEJddPfddbbbS9_S9_EEEvT_T0_DpT1_,@function
_ZN2at6native12_GLOBAL__N_125multi_tensor_apply_kernelINS1_18TensorListMetadataILi3EEENS1_19FusedSgdMathFunctorIN3c104HalfELi3EEEJddPfddbbbS9_S9_EEEvT_T0_DpT1_: ; @_ZN2at6native12_GLOBAL__N_125multi_tensor_apply_kernelINS1_18TensorListMetadataILi3EEENS1_19FusedSgdMathFunctorIN3c104HalfELi3EEEJddPfddbbbS9_S9_EEEvT_T0_DpT1_
; %bb.0:
	s_load_b128 s[16:19], s[0:1], 0xc80
	s_waitcnt lgkmcnt(0)
	s_cmp_eq_u64 s[18:19], 0
	s_cselect_b32 s2, -1, 0
	s_delay_alu instid0(SALU_CYCLE_1)
	s_and_b32 vcc_lo, exec_lo, s2
	s_cbranch_vccnz .LBB2_2
; %bb.1:
	s_load_b32 s2, s[18:19], 0x0
	s_waitcnt lgkmcnt(0)
	v_cmp_neq_f32_e64 s2, s2, 1.0
.LBB2_2:
	s_delay_alu instid0(VALU_DEP_1)
	s_and_not1_b32 vcc_lo, exec_lo, s2
	s_cbranch_vccnz .LBB2_75
; %bb.3:
	v_mov_b32_e32 v1, s15
	s_add_u32 s2, s0, s15
	s_mul_hi_u32 s3, s15, 3
	s_mul_i32 s15, s15, 3
	s_addc_u32 s18, s1, 0
	global_load_u8 v1, v1, s[0:1] offset:1536
	s_clause 0x1
	s_load_b256 s[4:11], s[0:1], 0xc50
	s_load_b64 s[12:13], s[0:1], 0xc70
	s_add_u32 s2, s2, s15
	s_addc_u32 s3, s18, s3
	s_mov_b32 s15, 0
	s_waitcnt lgkmcnt(0)
	s_cmp_eq_u64 s[8:9], 0
	s_waitcnt vmcnt(0)
	v_readfirstlane_b32 s14, v1
	s_cbranch_scc1 .LBB2_76
; %bb.4:
	s_load_b32 s9, s[8:9], 0x0
	s_load_b32 s8, s[2:3], 0x740
	s_waitcnt lgkmcnt(0)
	v_mov_b32_e32 v15, s9
	s_and_not1_b32 vcc_lo, exec_lo, s15
	s_cbranch_vccnz .LBB2_6
.LBB2_5:
	v_cvt_f32_f64_e32 v15, s[10:11]
.LBB2_6:
	s_load_b32 s3, s[0:1], 0xc78
	v_cvt_f32_f64_e32 v16, s[4:5]
	v_cvt_f32_f64_e32 v17, s[6:7]
	;; [unrolled: 1-line block ×3, first 2 shown]
	s_waitcnt lgkmcnt(0)
	s_bitcmp1_b32 s3, 0
	s_cselect_b32 s2, -1, 0
	s_bitcmp1_b32 s3, 8
	s_cselect_b32 s18, -1, 0
	s_bitcmp1_b32 s3, 16
	s_cselect_b32 s3, -1, 0
	s_and_b32 s9, s14, 0xff
	s_delay_alu instid0(SALU_CYCLE_1)
	s_lshl_b32 s9, s9, 3
	s_clause 0x3
	s_load_b64 s[14:15], s[0:1], s9 offset:0x480
	s_load_b64 s[4:5], s[0:1], s9 offset:0x0
	s_load_b64 s[6:7], s[0:1], s9 offset:0x180
	s_load_b64 s[12:13], s[0:1], s9 offset:0x300
	s_ashr_i32 s9, s8, 31
	s_delay_alu instid0(SALU_CYCLE_1) | instskip(SKIP_4) | instid1(SALU_CYCLE_1)
	s_lshl_b64 s[10:11], s[8:9], 16
	s_waitcnt lgkmcnt(0)
	s_sub_u32 s10, s14, s10
	s_subb_u32 s11, s15, s11
	s_lshl_b64 s[22:23], s[8:9], 17
	s_add_u32 s9, s4, s22
	s_addc_u32 s19, s5, s23
	s_and_b32 s4, s9, 7
	s_add_u32 s20, s6, s22
	s_addc_u32 s21, s7, s23
	s_and_b32 s5, s20, 7
	;; [unrolled: 3-line block ×3, first 2 shown]
	s_and_b32 s7, s22, 7
	s_delay_alu instid0(SALU_CYCLE_1) | instskip(NEXT) | instid1(SALU_CYCLE_1)
	s_or_b32 s6, s6, s7
	s_or_b32 s5, s6, s5
	s_delay_alu instid0(SALU_CYCLE_1) | instskip(SKIP_1) | instid1(SALU_CYCLE_1)
	s_or_b32 s4, s5, s4
	s_mov_b32 s5, 0
	s_cmp_eq_u64 s[4:5], 0
	s_mov_b32 s4, -1
	s_cbranch_scc1 .LBB2_61
; %bb.7:
	v_cmp_lt_i64_e64 s4, s[10:11], 1
	s_delay_alu instid0(VALU_DEP_1)
	s_and_b32 vcc_lo, exec_lo, s4
	s_cbranch_vccnz .LBB2_60
; %bb.8:
	s_load_b32 s4, s[0:1], 0xc9c
	v_cmp_gt_i64_e64 s5, 0x10000, s[10:11]
	v_sub_f32_e32 v10, 1.0, v9
	s_mov_b64 s[14:15], 0
	s_delay_alu instid0(VALU_DEP_2)
	s_and_b32 s5, s5, exec_lo
	s_cselect_b32 s13, s11, 0
	s_cselect_b32 s12, s10, 0x10000
	s_waitcnt lgkmcnt(0)
	s_and_b32 s24, s4, 0xffff
	v_cmp_neq_f32_e64 s4, 0, v16
	s_lshl_b32 s25, s24, 1
	s_cmp_lg_u64 s[16:17], 0
	s_mul_i32 s27, s24, 3
	s_cselect_b32 s26, -1, 0
	s_lshl_b32 s28, s24, 2
	s_branch .LBB2_10
.LBB2_9:                                ;   in Loop: Header=BB2_10 Depth=1
	s_or_b32 exec_lo, exec_lo, s5
	s_add_i32 s14, s14, s28
	s_delay_alu instid0(SALU_CYCLE_1) | instskip(NEXT) | instid1(SALU_CYCLE_1)
	s_ashr_i32 s15, s14, 31
	v_cmp_lt_i64_e64 s5, s[14:15], s[12:13]
	s_delay_alu instid0(VALU_DEP_1)
	s_and_b32 vcc_lo, exec_lo, s5
	s_cbranch_vccz .LBB2_60
.LBB2_10:                               ; =>This Inner Loop Header: Depth=1
	v_add_co_u32 v1, s5, s14, v0
	s_delay_alu instid0(VALU_DEP_1) | instskip(SKIP_1) | instid1(VALU_DEP_2)
	v_add_co_ci_u32_e64 v2, null, s15, 0, s5
	v_dual_mov_b32 v14, 0 :: v_dual_mov_b32 v11, 0
	v_cmp_gt_i64_e64 s5, s[12:13], v[1:2]
	s_delay_alu instid0(VALU_DEP_1)
	s_and_saveexec_b32 s6, s5
	s_cbranch_execz .LBB2_12
; %bb.11:                               ;   in Loop: Header=BB2_10 Depth=1
	v_lshlrev_b64 v[3:4], 1, v[1:2]
	s_delay_alu instid0(VALU_DEP_1) | instskip(NEXT) | instid1(VALU_DEP_2)
	v_add_co_u32 v5, vcc_lo, s9, v3
	v_add_co_ci_u32_e32 v6, vcc_lo, s19, v4, vcc_lo
	v_add_co_u32 v3, vcc_lo, s20, v3
	v_add_co_ci_u32_e32 v4, vcc_lo, s21, v4, vcc_lo
	global_load_u16 v14, v[5:6], off
	global_load_u16 v11, v[3:4], off
.LBB2_12:                               ;   in Loop: Header=BB2_10 Depth=1
	s_or_b32 exec_lo, exec_lo, s6
	v_dual_mov_b32 v18, 0 :: v_dual_mov_b32 v21, 0
	s_and_saveexec_b32 s6, s5
	s_cbranch_execz .LBB2_14
; %bb.13:                               ;   in Loop: Header=BB2_10 Depth=1
	v_lshlrev_b64 v[3:4], 1, v[1:2]
	s_delay_alu instid0(VALU_DEP_1) | instskip(NEXT) | instid1(VALU_DEP_2)
	v_add_co_u32 v3, vcc_lo, s22, v3
	v_add_co_ci_u32_e32 v4, vcc_lo, s23, v4, vcc_lo
	global_load_u16 v21, v[3:4], off
.LBB2_14:                               ;   in Loop: Header=BB2_10 Depth=1
	s_or_b32 exec_lo, exec_lo, s6
	v_add_co_u32 v3, vcc_lo, v1, s24
	v_add_co_ci_u32_e32 v4, vcc_lo, 0, v2, vcc_lo
	v_mov_b32_e32 v12, 0
	s_delay_alu instid0(VALU_DEP_2) | instskip(NEXT) | instid1(VALU_DEP_1)
	v_cmp_gt_i64_e64 s6, s[12:13], v[3:4]
	s_and_saveexec_b32 s7, s6
	s_cbranch_execz .LBB2_16
; %bb.15:                               ;   in Loop: Header=BB2_10 Depth=1
	v_lshlrev_b64 v[5:6], 1, v[3:4]
	s_delay_alu instid0(VALU_DEP_1) | instskip(NEXT) | instid1(VALU_DEP_2)
	v_add_co_u32 v7, vcc_lo, s9, v5
	v_add_co_ci_u32_e32 v8, vcc_lo, s19, v6, vcc_lo
	v_add_co_u32 v5, vcc_lo, s20, v5
	v_add_co_ci_u32_e32 v6, vcc_lo, s21, v6, vcc_lo
	global_load_u16 v18, v[7:8], off
	global_load_u16 v12, v[5:6], off
.LBB2_16:                               ;   in Loop: Header=BB2_10 Depth=1
	s_or_b32 exec_lo, exec_lo, s7
	v_dual_mov_b32 v20, 0 :: v_dual_mov_b32 v23, 0
	s_and_saveexec_b32 s7, s6
	s_cbranch_execz .LBB2_18
; %bb.17:                               ;   in Loop: Header=BB2_10 Depth=1
	v_lshlrev_b64 v[5:6], 1, v[3:4]
	s_delay_alu instid0(VALU_DEP_1) | instskip(NEXT) | instid1(VALU_DEP_2)
	v_add_co_u32 v5, vcc_lo, s22, v5
	v_add_co_ci_u32_e32 v6, vcc_lo, s23, v6, vcc_lo
	global_load_u16 v23, v[5:6], off
.LBB2_18:                               ;   in Loop: Header=BB2_10 Depth=1
	s_or_b32 exec_lo, exec_lo, s7
	v_add_co_u32 v5, vcc_lo, v1, s25
	v_add_co_ci_u32_e32 v6, vcc_lo, 0, v2, vcc_lo
	v_mov_b32_e32 v13, 0
	s_delay_alu instid0(VALU_DEP_2) | instskip(NEXT) | instid1(VALU_DEP_1)
	v_cmp_gt_i64_e64 s7, s[12:13], v[5:6]
	s_and_saveexec_b32 s8, s7
	s_cbranch_execz .LBB2_20
; %bb.19:                               ;   in Loop: Header=BB2_10 Depth=1
	v_lshlrev_b64 v[7:8], 1, v[5:6]
	s_delay_alu instid0(VALU_DEP_1) | instskip(NEXT) | instid1(VALU_DEP_2)
	v_add_co_u32 v19, vcc_lo, s9, v7
	v_add_co_ci_u32_e32 v20, vcc_lo, s19, v8, vcc_lo
	v_add_co_u32 v7, vcc_lo, s20, v7
	v_add_co_ci_u32_e32 v8, vcc_lo, s21, v8, vcc_lo
	global_load_u16 v20, v[19:20], off
	global_load_u16 v13, v[7:8], off
.LBB2_20:                               ;   in Loop: Header=BB2_10 Depth=1
	s_or_b32 exec_lo, exec_lo, s8
	v_mov_b32_e32 v22, 0
	v_mov_b32_e32 v24, 0
	s_and_saveexec_b32 s8, s7
	s_cbranch_execz .LBB2_22
; %bb.21:                               ;   in Loop: Header=BB2_10 Depth=1
	v_lshlrev_b64 v[7:8], 1, v[5:6]
	s_delay_alu instid0(VALU_DEP_1) | instskip(NEXT) | instid1(VALU_DEP_2)
	v_add_co_u32 v7, vcc_lo, s22, v7
	v_add_co_ci_u32_e32 v8, vcc_lo, s23, v8, vcc_lo
	global_load_u16 v24, v[7:8], off
.LBB2_22:                               ;   in Loop: Header=BB2_10 Depth=1
	s_or_b32 exec_lo, exec_lo, s8
	v_add_co_u32 v7, vcc_lo, v1, s27
	v_add_co_ci_u32_e32 v8, vcc_lo, 0, v2, vcc_lo
	v_mov_b32_e32 v19, 0
	s_delay_alu instid0(VALU_DEP_2) | instskip(NEXT) | instid1(VALU_DEP_1)
	v_cmp_gt_i64_e64 s8, s[12:13], v[7:8]
	s_and_saveexec_b32 s15, s8
	s_cbranch_execnz .LBB2_51
; %bb.23:                               ;   in Loop: Header=BB2_10 Depth=1
	s_or_b32 exec_lo, exec_lo, s15
	v_mov_b32_e32 v25, 0
	s_and_saveexec_b32 s15, s8
	s_cbranch_execnz .LBB2_52
.LBB2_24:                               ;   in Loop: Header=BB2_10 Depth=1
	s_or_b32 exec_lo, exec_lo, s15
	s_waitcnt vmcnt(0)
	v_cvt_f32_f16_e32 v26, v11
	s_and_not1_b32 vcc_lo, exec_lo, s26
	s_cbranch_vccnz .LBB2_26
.LBB2_25:                               ;   in Loop: Header=BB2_10 Depth=1
	s_load_b32 s15, s[16:17], 0x0
	s_waitcnt lgkmcnt(0)
	v_div_scale_f32 v11, null, s15, s15, v26
	s_delay_alu instid0(VALU_DEP_1) | instskip(SKIP_2) | instid1(VALU_DEP_1)
	v_rcp_f32_e32 v27, v11
	s_waitcnt_depctr 0xfff
	v_fma_f32 v28, -v11, v27, 1.0
	v_fmac_f32_e32 v27, v28, v27
	v_div_scale_f32 v28, vcc_lo, v26, s15, v26
	s_delay_alu instid0(VALU_DEP_1) | instskip(NEXT) | instid1(VALU_DEP_1)
	v_mul_f32_e32 v29, v28, v27
	v_fma_f32 v30, -v11, v29, v28
	s_delay_alu instid0(VALU_DEP_1) | instskip(NEXT) | instid1(VALU_DEP_1)
	v_fmac_f32_e32 v29, v30, v27
	v_fma_f32 v11, -v11, v29, v28
	s_delay_alu instid0(VALU_DEP_1) | instskip(NEXT) | instid1(VALU_DEP_1)
	v_div_fmas_f32 v11, v11, v27, v29
	v_div_fixup_f32 v26, v11, s15, v26
	s_delay_alu instid0(VALU_DEP_1)
	v_cvt_f16_f32_e32 v11, v26
.LBB2_26:                               ;   in Loop: Header=BB2_10 Depth=1
	v_cvt_f32_f16_e32 v27, v12
	s_and_not1_b32 vcc_lo, exec_lo, s26
	s_cbranch_vccnz .LBB2_28
; %bb.27:                               ;   in Loop: Header=BB2_10 Depth=1
	s_load_b32 s15, s[16:17], 0x0
	s_waitcnt lgkmcnt(0)
	v_div_scale_f32 v12, null, s15, s15, v27
	s_delay_alu instid0(VALU_DEP_1) | instskip(SKIP_2) | instid1(VALU_DEP_1)
	v_rcp_f32_e32 v28, v12
	s_waitcnt_depctr 0xfff
	v_fma_f32 v29, -v12, v28, 1.0
	v_fmac_f32_e32 v28, v29, v28
	v_div_scale_f32 v29, vcc_lo, v27, s15, v27
	s_delay_alu instid0(VALU_DEP_1) | instskip(NEXT) | instid1(VALU_DEP_1)
	v_mul_f32_e32 v30, v29, v28
	v_fma_f32 v31, -v12, v30, v29
	s_delay_alu instid0(VALU_DEP_1) | instskip(NEXT) | instid1(VALU_DEP_1)
	v_fmac_f32_e32 v30, v31, v28
	v_fma_f32 v12, -v12, v30, v29
	s_delay_alu instid0(VALU_DEP_1) | instskip(NEXT) | instid1(VALU_DEP_1)
	v_div_fmas_f32 v12, v12, v28, v30
	v_div_fixup_f32 v27, v12, s15, v27
	s_delay_alu instid0(VALU_DEP_1)
	v_cvt_f16_f32_e32 v12, v27
.LBB2_28:                               ;   in Loop: Header=BB2_10 Depth=1
	v_cvt_f32_f16_e32 v28, v13
	s_and_not1_b32 vcc_lo, exec_lo, s26
	s_cbranch_vccnz .LBB2_30
; %bb.29:                               ;   in Loop: Header=BB2_10 Depth=1
	s_load_b32 s15, s[16:17], 0x0
	s_waitcnt lgkmcnt(0)
	v_div_scale_f32 v13, null, s15, s15, v28
	s_delay_alu instid0(VALU_DEP_1) | instskip(SKIP_2) | instid1(VALU_DEP_1)
	v_rcp_f32_e32 v29, v13
	s_waitcnt_depctr 0xfff
	v_fma_f32 v30, -v13, v29, 1.0
	v_fmac_f32_e32 v29, v30, v29
	v_div_scale_f32 v30, vcc_lo, v28, s15, v28
	s_delay_alu instid0(VALU_DEP_1) | instskip(NEXT) | instid1(VALU_DEP_1)
	v_mul_f32_e32 v31, v30, v29
	v_fma_f32 v32, -v13, v31, v30
	s_delay_alu instid0(VALU_DEP_1) | instskip(NEXT) | instid1(VALU_DEP_1)
	v_fmac_f32_e32 v31, v32, v29
	v_fma_f32 v13, -v13, v31, v30
	s_delay_alu instid0(VALU_DEP_1) | instskip(NEXT) | instid1(VALU_DEP_1)
	v_div_fmas_f32 v13, v13, v29, v31
	v_div_fixup_f32 v28, v13, s15, v28
	s_delay_alu instid0(VALU_DEP_1)
	v_cvt_f16_f32_e32 v13, v28
.LBB2_30:                               ;   in Loop: Header=BB2_10 Depth=1
	;; [unrolled: 25-line block ×3, first 2 shown]
	v_cndmask_b32_e64 v26, v26, -v26, s18
	s_delay_alu instid0(VALU_DEP_1) | instskip(NEXT) | instid1(VALU_DEP_1)
	v_fma_mix_f32 v30, v16, v14, v26 op_sel_hi:[0,1,0]
	v_cndmask_b32_e64 v26, v26, v30, s4
	s_delay_alu instid0(VALU_DEP_1) | instskip(NEXT) | instid1(VALU_DEP_1)
	v_mul_f32_e32 v30, v10, v26
	v_fma_mix_f32 v21, v17, v21, v30 op_sel_hi:[0,1,0]
	s_delay_alu instid0(VALU_DEP_1)
	v_cndmask_b32_e64 v21, v21, v26, s3
	s_and_saveexec_b32 s15, s5
	s_cbranch_execz .LBB2_34
; %bb.33:                               ;   in Loop: Header=BB2_10 Depth=1
	s_delay_alu instid0(VALU_DEP_1) | instskip(SKIP_2) | instid1(VALU_DEP_3)
	v_fmac_f32_e32 v26, v21, v17
	v_lshlrev_b64 v[30:31], 1, v[1:2]
	v_cvt_f32_f16_e32 v14, v14
	v_cndmask_b32_e64 v26, v21, v26, s2
	s_delay_alu instid0(VALU_DEP_3) | instskip(NEXT) | instid1(VALU_DEP_4)
	v_add_co_u32 v30, vcc_lo, s9, v30
	v_add_co_ci_u32_e32 v31, vcc_lo, s19, v31, vcc_lo
	s_delay_alu instid0(VALU_DEP_3)
	v_fma_mixlo_f16 v14, -v15, v26, v14
	global_store_b16 v[30:31], v14, off
.LBB2_34:                               ;   in Loop: Header=BB2_10 Depth=1
	s_or_b32 exec_lo, exec_lo, s15
	v_cndmask_b32_e64 v14, v27, -v27, s18
	s_delay_alu instid0(VALU_DEP_1) | instskip(NEXT) | instid1(VALU_DEP_1)
	v_fma_mix_f32 v26, v16, v18, v14 op_sel_hi:[0,1,0]
	v_cndmask_b32_e64 v26, v14, v26, s4
	s_delay_alu instid0(VALU_DEP_1) | instskip(NEXT) | instid1(VALU_DEP_1)
	v_mul_f32_e32 v14, v10, v26
	v_fma_mix_f32 v14, v17, v23, v14 op_sel_hi:[0,1,0]
	s_delay_alu instid0(VALU_DEP_1)
	v_cndmask_b32_e64 v14, v14, v26, s3
	s_and_saveexec_b32 s15, s6
	s_cbranch_execz .LBB2_36
; %bb.35:                               ;   in Loop: Header=BB2_10 Depth=1
	s_delay_alu instid0(VALU_DEP_1) | instskip(SKIP_1) | instid1(VALU_DEP_2)
	v_fmac_f32_e32 v26, v14, v17
	v_cvt_f32_f16_e32 v18, v18
	v_cndmask_b32_e64 v23, v14, v26, s2
	v_lshlrev_b64 v[26:27], 1, v[3:4]
	s_delay_alu instid0(VALU_DEP_2) | instskip(NEXT) | instid1(VALU_DEP_2)
	v_fma_mixlo_f16 v18, -v15, v23, v18
	v_add_co_u32 v26, vcc_lo, s9, v26
	s_delay_alu instid0(VALU_DEP_3)
	v_add_co_ci_u32_e32 v27, vcc_lo, s19, v27, vcc_lo
	global_store_b16 v[26:27], v18, off
.LBB2_36:                               ;   in Loop: Header=BB2_10 Depth=1
	s_or_b32 exec_lo, exec_lo, s15
	v_cndmask_b32_e64 v18, v28, -v28, s18
	s_delay_alu instid0(VALU_DEP_1) | instskip(NEXT) | instid1(VALU_DEP_1)
	v_fma_mix_f32 v23, v16, v20, v18 op_sel_hi:[0,1,0]
	v_cndmask_b32_e64 v23, v18, v23, s4
	s_delay_alu instid0(VALU_DEP_1) | instskip(NEXT) | instid1(VALU_DEP_1)
	v_mul_f32_e32 v18, v10, v23
	v_fma_mix_f32 v18, v17, v24, v18 op_sel_hi:[0,1,0]
	s_delay_alu instid0(VALU_DEP_1)
	v_cndmask_b32_e64 v18, v18, v23, s3
	s_and_saveexec_b32 s15, s7
	s_cbranch_execz .LBB2_38
; %bb.37:                               ;   in Loop: Header=BB2_10 Depth=1
	s_delay_alu instid0(VALU_DEP_1) | instskip(SKIP_1) | instid1(VALU_DEP_2)
	v_fmac_f32_e32 v23, v18, v17
	v_cvt_f32_f16_e32 v20, v20
	v_cndmask_b32_e64 v26, v18, v23, s2
	v_lshlrev_b64 v[23:24], 1, v[5:6]
	s_delay_alu instid0(VALU_DEP_2) | instskip(NEXT) | instid1(VALU_DEP_2)
	v_fma_mixlo_f16 v20, -v15, v26, v20
	v_add_co_u32 v23, vcc_lo, s9, v23
	s_delay_alu instid0(VALU_DEP_3)
	v_add_co_ci_u32_e32 v24, vcc_lo, s19, v24, vcc_lo
	global_store_b16 v[23:24], v20, off
.LBB2_38:                               ;   in Loop: Header=BB2_10 Depth=1
	s_or_b32 exec_lo, exec_lo, s15
	v_cndmask_b32_e64 v20, v29, -v29, s18
	s_delay_alu instid0(VALU_DEP_1) | instskip(NEXT) | instid1(VALU_DEP_1)
	v_fma_mix_f32 v23, v16, v22, v20 op_sel_hi:[0,1,0]
	v_cndmask_b32_e64 v23, v20, v23, s4
	s_delay_alu instid0(VALU_DEP_1) | instskip(SKIP_1) | instid1(VALU_DEP_1)
	v_mul_f32_e32 v20, v10, v23
	s_waitcnt vmcnt(0)
	v_fma_mix_f32 v20, v17, v25, v20 op_sel_hi:[0,1,0]
	s_delay_alu instid0(VALU_DEP_1)
	v_cndmask_b32_e64 v20, v20, v23, s3
	s_and_saveexec_b32 s15, s8
	s_cbranch_execz .LBB2_40
; %bb.39:                               ;   in Loop: Header=BB2_10 Depth=1
	s_delay_alu instid0(VALU_DEP_1) | instskip(SKIP_1) | instid1(VALU_DEP_2)
	v_fmac_f32_e32 v23, v20, v17
	v_cvt_f32_f16_e32 v24, v22
	v_cndmask_b32_e64 v25, v20, v23, s2
	v_lshlrev_b64 v[22:23], 1, v[7:8]
	s_delay_alu instid0(VALU_DEP_2) | instskip(NEXT) | instid1(VALU_DEP_2)
	v_fma_mixlo_f16 v24, -v15, v25, v24
	v_add_co_u32 v22, vcc_lo, s9, v22
	s_delay_alu instid0(VALU_DEP_3)
	v_add_co_ci_u32_e32 v23, vcc_lo, s19, v23, vcc_lo
	global_store_b16 v[22:23], v24, off
.LBB2_40:                               ;   in Loop: Header=BB2_10 Depth=1
	s_or_b32 exec_lo, exec_lo, s15
	s_delay_alu instid0(SALU_CYCLE_1)
	s_and_not1_b32 vcc_lo, exec_lo, s26
	s_cbranch_vccnz .LBB2_47
; %bb.41:                               ;   in Loop: Header=BB2_10 Depth=1
	s_and_saveexec_b32 s15, s5
	s_cbranch_execnz .LBB2_57
; %bb.42:                               ;   in Loop: Header=BB2_10 Depth=1
	s_or_b32 exec_lo, exec_lo, s15
	s_and_saveexec_b32 s15, s6
	s_cbranch_execnz .LBB2_58
.LBB2_43:                               ;   in Loop: Header=BB2_10 Depth=1
	s_or_b32 exec_lo, exec_lo, s15
	s_and_saveexec_b32 s15, s7
	s_cbranch_execnz .LBB2_59
.LBB2_44:                               ;   in Loop: Header=BB2_10 Depth=1
	s_or_b32 exec_lo, exec_lo, s15
	s_and_saveexec_b32 s15, s8
	s_cbranch_execz .LBB2_46
.LBB2_45:                               ;   in Loop: Header=BB2_10 Depth=1
	v_lshlrev_b64 v[11:12], 1, v[7:8]
	s_delay_alu instid0(VALU_DEP_1) | instskip(NEXT) | instid1(VALU_DEP_2)
	v_add_co_u32 v11, vcc_lo, s20, v11
	v_add_co_ci_u32_e32 v12, vcc_lo, s21, v12, vcc_lo
	global_store_b16 v[11:12], v19, off
.LBB2_46:                               ;   in Loop: Header=BB2_10 Depth=1
	s_or_b32 exec_lo, exec_lo, s15
.LBB2_47:                               ;   in Loop: Header=BB2_10 Depth=1
	s_and_saveexec_b32 s15, s5
	s_cbranch_execnz .LBB2_53
; %bb.48:                               ;   in Loop: Header=BB2_10 Depth=1
	s_or_b32 exec_lo, exec_lo, s15
	s_and_saveexec_b32 s5, s6
	s_cbranch_execnz .LBB2_54
.LBB2_49:                               ;   in Loop: Header=BB2_10 Depth=1
	s_or_b32 exec_lo, exec_lo, s5
	s_and_saveexec_b32 s5, s7
	s_cbranch_execnz .LBB2_55
.LBB2_50:                               ;   in Loop: Header=BB2_10 Depth=1
	s_or_b32 exec_lo, exec_lo, s5
	s_and_saveexec_b32 s5, s8
	s_cbranch_execz .LBB2_9
	s_branch .LBB2_56
.LBB2_51:                               ;   in Loop: Header=BB2_10 Depth=1
	v_lshlrev_b64 v[25:26], 1, v[7:8]
	s_delay_alu instid0(VALU_DEP_1) | instskip(NEXT) | instid1(VALU_DEP_2)
	v_add_co_u32 v27, vcc_lo, s9, v25
	v_add_co_ci_u32_e32 v28, vcc_lo, s19, v26, vcc_lo
	v_add_co_u32 v25, vcc_lo, s20, v25
	v_add_co_ci_u32_e32 v26, vcc_lo, s21, v26, vcc_lo
	global_load_u16 v22, v[27:28], off
	global_load_u16 v19, v[25:26], off
	s_or_b32 exec_lo, exec_lo, s15
	v_mov_b32_e32 v25, 0
	s_and_saveexec_b32 s15, s8
	s_cbranch_execz .LBB2_24
.LBB2_52:                               ;   in Loop: Header=BB2_10 Depth=1
	v_lshlrev_b64 v[25:26], 1, v[7:8]
	s_delay_alu instid0(VALU_DEP_1) | instskip(NEXT) | instid1(VALU_DEP_2)
	v_add_co_u32 v25, vcc_lo, s22, v25
	v_add_co_ci_u32_e32 v26, vcc_lo, s23, v26, vcc_lo
	global_load_u16 v25, v[25:26], off
	s_or_b32 exec_lo, exec_lo, s15
	s_waitcnt vmcnt(1)
	v_cvt_f32_f16_e32 v26, v11
	s_and_not1_b32 vcc_lo, exec_lo, s26
	s_cbranch_vccz .LBB2_25
	s_branch .LBB2_26
.LBB2_53:                               ;   in Loop: Header=BB2_10 Depth=1
	v_lshlrev_b64 v[1:2], 1, v[1:2]
	v_cvt_f16_f32_e32 v11, v21
	s_delay_alu instid0(VALU_DEP_2) | instskip(NEXT) | instid1(VALU_DEP_3)
	v_add_co_u32 v1, vcc_lo, s22, v1
	v_add_co_ci_u32_e32 v2, vcc_lo, s23, v2, vcc_lo
	global_store_b16 v[1:2], v11, off
	s_or_b32 exec_lo, exec_lo, s15
	s_and_saveexec_b32 s5, s6
	s_cbranch_execz .LBB2_49
.LBB2_54:                               ;   in Loop: Header=BB2_10 Depth=1
	v_lshlrev_b64 v[1:2], 1, v[3:4]
	v_cvt_f16_f32_e32 v3, v14
	s_delay_alu instid0(VALU_DEP_2) | instskip(NEXT) | instid1(VALU_DEP_3)
	v_add_co_u32 v1, vcc_lo, s22, v1
	v_add_co_ci_u32_e32 v2, vcc_lo, s23, v2, vcc_lo
	global_store_b16 v[1:2], v3, off
	s_or_b32 exec_lo, exec_lo, s5
	s_and_saveexec_b32 s5, s7
	s_cbranch_execz .LBB2_50
.LBB2_55:                               ;   in Loop: Header=BB2_10 Depth=1
	v_lshlrev_b64 v[1:2], 1, v[5:6]
	v_cvt_f16_f32_e32 v3, v18
	s_delay_alu instid0(VALU_DEP_2) | instskip(NEXT) | instid1(VALU_DEP_3)
	v_add_co_u32 v1, vcc_lo, s22, v1
	v_add_co_ci_u32_e32 v2, vcc_lo, s23, v2, vcc_lo
	global_store_b16 v[1:2], v3, off
	s_or_b32 exec_lo, exec_lo, s5
	s_and_saveexec_b32 s5, s8
	s_cbranch_execz .LBB2_9
.LBB2_56:                               ;   in Loop: Header=BB2_10 Depth=1
	v_lshlrev_b64 v[1:2], 1, v[7:8]
	v_cvt_f16_f32_e32 v3, v20
	s_delay_alu instid0(VALU_DEP_2) | instskip(NEXT) | instid1(VALU_DEP_3)
	v_add_co_u32 v1, vcc_lo, s22, v1
	v_add_co_ci_u32_e32 v2, vcc_lo, s23, v2, vcc_lo
	global_store_b16 v[1:2], v3, off
	s_branch .LBB2_9
.LBB2_57:                               ;   in Loop: Header=BB2_10 Depth=1
	v_lshlrev_b64 v[22:23], 1, v[1:2]
	s_delay_alu instid0(VALU_DEP_1) | instskip(NEXT) | instid1(VALU_DEP_2)
	v_add_co_u32 v22, vcc_lo, s20, v22
	v_add_co_ci_u32_e32 v23, vcc_lo, s21, v23, vcc_lo
	global_store_b16 v[22:23], v11, off
	s_or_b32 exec_lo, exec_lo, s15
	s_and_saveexec_b32 s15, s6
	s_cbranch_execz .LBB2_43
.LBB2_58:                               ;   in Loop: Header=BB2_10 Depth=1
	v_lshlrev_b64 v[22:23], 1, v[3:4]
	s_delay_alu instid0(VALU_DEP_1) | instskip(NEXT) | instid1(VALU_DEP_2)
	v_add_co_u32 v22, vcc_lo, s20, v22
	v_add_co_ci_u32_e32 v23, vcc_lo, s21, v23, vcc_lo
	global_store_b16 v[22:23], v12, off
	s_or_b32 exec_lo, exec_lo, s15
	s_and_saveexec_b32 s15, s7
	s_cbranch_execz .LBB2_44
.LBB2_59:                               ;   in Loop: Header=BB2_10 Depth=1
	v_lshlrev_b64 v[11:12], 1, v[5:6]
	s_delay_alu instid0(VALU_DEP_1) | instskip(NEXT) | instid1(VALU_DEP_2)
	v_add_co_u32 v11, vcc_lo, s20, v11
	v_add_co_ci_u32_e32 v12, vcc_lo, s21, v12, vcc_lo
	global_store_b16 v[11:12], v13, off
	s_or_b32 exec_lo, exec_lo, s15
	s_and_saveexec_b32 s15, s8
	s_cbranch_execnz .LBB2_45
	s_branch .LBB2_46
.LBB2_60:
	s_mov_b32 s4, 0
.LBB2_61:
	s_delay_alu instid0(SALU_CYCLE_1)
	s_and_not1_b32 vcc_lo, exec_lo, s4
	s_cbranch_vccnz .LBB2_75
; %bb.62:
	v_dual_mov_b32 v2, 0 :: v_dual_lshlrev_b32 v1, 2, v0
	s_mov_b32 s4, 0
	s_mov_b32 s5, exec_lo
	s_delay_alu instid0(VALU_DEP_1)
	v_cmpx_gt_i64_e64 s[10:11], v[1:2]
	s_cbranch_execz .LBB2_75
; %bb.63:
	s_load_b32 s1, s[0:1], 0xc9c
	v_dual_mov_b32 v1, v2 :: v_dual_sub_f32 v18, 1.0, v9
	v_cmp_neq_f32_e64 s0, 0, v16
	s_cmp_lg_u64 s[16:17], 0
	s_cselect_b32 s5, -1, 0
	s_waitcnt lgkmcnt(0)
	s_and_b32 s6, s1, 0xffff
	s_branch .LBB2_65
.LBB2_64:                               ;   in Loop: Header=BB2_65 Depth=1
	v_add_nc_u32_e32 v1, s6, v0
	v_cvt_f16_f32_e32 v0, v21
	v_cvt_f16_f32_e32 v7, v12
	;; [unrolled: 1-line block ×3, first 2 shown]
	s_delay_alu instid0(VALU_DEP_4) | instskip(SKIP_1) | instid1(VALU_DEP_2)
	v_lshlrev_b64 v[5:6], 2, v[1:2]
	v_cmp_lt_u32_e64 s1, 0x3fff, v1
	v_cmp_le_u64_e32 vcc_lo, s[10:11], v[5:6]
	v_cvt_f16_f32_e32 v5, v11
	v_pack_b32_f16 v6, v7, v0
	v_mov_b32_e32 v0, v1
	v_mov_b32_e32 v1, v2
	s_delay_alu instid0(VALU_DEP_4) | instskip(SKIP_1) | instid1(SALU_CYCLE_1)
	v_pack_b32_f16 v5, v5, v8
	s_or_b32 s1, s1, vcc_lo
	s_and_b32 s1, exec_lo, s1
	s_delay_alu instid0(SALU_CYCLE_1)
	s_or_b32 s4, s1, s4
	global_store_b64 v[3:4], v[5:6], off
	s_and_not1_b32 exec_lo, exec_lo, s4
	s_cbranch_execz .LBB2_75
.LBB2_65:                               ; =>This Inner Loop Header: Depth=1
	v_lshlrev_b64 v[3:4], 3, v[0:1]
	s_delay_alu instid0(VALU_DEP_1) | instskip(NEXT) | instid1(VALU_DEP_2)
	v_add_co_u32 v5, vcc_lo, s20, v3
	v_add_co_ci_u32_e32 v6, vcc_lo, s21, v4, vcc_lo
	v_add_co_u32 v7, vcc_lo, s9, v3
	v_add_co_ci_u32_e32 v8, vcc_lo, s19, v4, vcc_lo
	v_add_co_u32 v3, vcc_lo, s22, v3
	global_load_b64 v[13:14], v[5:6], off
	v_add_co_ci_u32_e32 v4, vcc_lo, s23, v4, vcc_lo
	global_load_b64 v[9:10], v[7:8], off
	global_load_b64 v[11:12], v[3:4], off
	s_and_not1_b32 vcc_lo, exec_lo, s5
	s_waitcnt vmcnt(2)
	v_cvt_f32_f16_e32 v19, v13
	s_cbranch_vccnz .LBB2_73
; %bb.66:                               ;   in Loop: Header=BB2_65 Depth=1
	global_load_b32 v1, v2, s[16:17]
	s_waitcnt vmcnt(0)
	v_div_scale_f32 v20, null, v1, v1, v19
	s_delay_alu instid0(VALU_DEP_1) | instskip(SKIP_2) | instid1(VALU_DEP_1)
	v_rcp_f32_e32 v21, v20
	s_waitcnt_depctr 0xfff
	v_fma_f32 v22, -v20, v21, 1.0
	v_fmac_f32_e32 v21, v22, v21
	v_div_scale_f32 v22, vcc_lo, v19, v1, v19
	s_delay_alu instid0(VALU_DEP_1) | instskip(NEXT) | instid1(VALU_DEP_1)
	v_mul_f32_e32 v23, v22, v21
	v_fma_f32 v24, -v20, v23, v22
	s_delay_alu instid0(VALU_DEP_1) | instskip(NEXT) | instid1(VALU_DEP_1)
	v_fmac_f32_e32 v23, v24, v21
	v_fma_f32 v20, -v20, v23, v22
	s_delay_alu instid0(VALU_DEP_1) | instskip(NEXT) | instid1(VALU_DEP_1)
	v_div_fmas_f32 v20, v20, v21, v23
	v_div_fixup_f32 v19, v20, v1, v19
	s_delay_alu instid0(VALU_DEP_1) | instskip(SKIP_2) | instid1(VALU_DEP_1)
	v_cvt_f16_f32_e32 v1, v19
	v_lshrrev_b32_e32 v13, 16, v13
	s_and_not1_b32 vcc_lo, exec_lo, s5
	v_cvt_f32_f16_e32 v21, v13
	s_cbranch_vccnz .LBB2_68
.LBB2_67:                               ;   in Loop: Header=BB2_65 Depth=1
	global_load_b32 v13, v2, s[16:17]
	s_waitcnt vmcnt(0)
	v_div_scale_f32 v20, null, v13, v13, v21
	s_delay_alu instid0(VALU_DEP_1) | instskip(SKIP_2) | instid1(VALU_DEP_1)
	v_rcp_f32_e32 v22, v20
	s_waitcnt_depctr 0xfff
	v_fma_f32 v23, -v20, v22, 1.0
	v_fmac_f32_e32 v22, v23, v22
	v_div_scale_f32 v23, vcc_lo, v21, v13, v21
	s_delay_alu instid0(VALU_DEP_1) | instskip(NEXT) | instid1(VALU_DEP_1)
	v_mul_f32_e32 v24, v23, v22
	v_fma_f32 v25, -v20, v24, v23
	s_delay_alu instid0(VALU_DEP_1) | instskip(NEXT) | instid1(VALU_DEP_1)
	v_fmac_f32_e32 v24, v25, v22
	v_fma_f32 v20, -v20, v24, v23
	s_delay_alu instid0(VALU_DEP_1) | instskip(NEXT) | instid1(VALU_DEP_1)
	v_div_fmas_f32 v20, v20, v22, v24
	v_div_fixup_f32 v21, v20, v13, v21
	s_delay_alu instid0(VALU_DEP_1)
	v_cvt_f16_f32_e32 v13, v21
.LBB2_68:                               ;   in Loop: Header=BB2_65 Depth=1
	v_cvt_f32_f16_e32 v22, v14
	s_and_not1_b32 vcc_lo, exec_lo, s5
	s_cbranch_vccnz .LBB2_74
; %bb.69:                               ;   in Loop: Header=BB2_65 Depth=1
	global_load_b32 v20, v2, s[16:17]
	s_waitcnt vmcnt(0)
	v_div_scale_f32 v23, null, v20, v20, v22
	s_delay_alu instid0(VALU_DEP_1) | instskip(SKIP_2) | instid1(VALU_DEP_1)
	v_rcp_f32_e32 v24, v23
	s_waitcnt_depctr 0xfff
	v_fma_f32 v25, -v23, v24, 1.0
	v_fmac_f32_e32 v24, v25, v24
	v_div_scale_f32 v25, vcc_lo, v22, v20, v22
	s_delay_alu instid0(VALU_DEP_1) | instskip(NEXT) | instid1(VALU_DEP_1)
	v_mul_f32_e32 v26, v25, v24
	v_fma_f32 v27, -v23, v26, v25
	s_delay_alu instid0(VALU_DEP_1) | instskip(NEXT) | instid1(VALU_DEP_1)
	v_fmac_f32_e32 v26, v27, v24
	v_fma_f32 v23, -v23, v26, v25
	s_delay_alu instid0(VALU_DEP_1) | instskip(NEXT) | instid1(VALU_DEP_1)
	v_div_fmas_f32 v23, v23, v24, v26
	v_div_fixup_f32 v22, v23, v20, v22
	s_delay_alu instid0(VALU_DEP_1) | instskip(SKIP_2) | instid1(VALU_DEP_1)
	v_cvt_f16_f32_e32 v20, v22
	v_lshrrev_b32_e32 v14, 16, v14
	s_and_not1_b32 vcc_lo, exec_lo, s5
	v_cvt_f32_f16_e32 v23, v14
	s_cbranch_vccnz .LBB2_71
.LBB2_70:                               ;   in Loop: Header=BB2_65 Depth=1
	global_load_b32 v14, v2, s[16:17]
	s_waitcnt vmcnt(0)
	v_div_scale_f32 v24, null, v14, v14, v23
	s_delay_alu instid0(VALU_DEP_1) | instskip(SKIP_2) | instid1(VALU_DEP_1)
	v_rcp_f32_e32 v25, v24
	s_waitcnt_depctr 0xfff
	v_fma_f32 v26, -v24, v25, 1.0
	v_fmac_f32_e32 v25, v26, v25
	v_div_scale_f32 v26, vcc_lo, v23, v14, v23
	s_delay_alu instid0(VALU_DEP_1) | instskip(NEXT) | instid1(VALU_DEP_1)
	v_mul_f32_e32 v27, v26, v25
	v_fma_f32 v28, -v24, v27, v26
	s_delay_alu instid0(VALU_DEP_1) | instskip(NEXT) | instid1(VALU_DEP_1)
	v_fmac_f32_e32 v27, v28, v25
	v_fma_f32 v24, -v24, v27, v26
	s_delay_alu instid0(VALU_DEP_1) | instskip(NEXT) | instid1(VALU_DEP_1)
	v_div_fmas_f32 v24, v24, v25, v27
	v_div_fixup_f32 v23, v24, v14, v23
	s_delay_alu instid0(VALU_DEP_1)
	v_cvt_f16_f32_e32 v14, v23
.LBB2_71:                               ;   in Loop: Header=BB2_65 Depth=1
	v_cndmask_b32_e64 v19, v19, -v19, s18
	v_cndmask_b32_e64 v22, v22, -v22, s18
	;; [unrolled: 1-line block ×4, first 2 shown]
	s_and_not1_b32 vcc_lo, exec_lo, s5
	s_waitcnt vmcnt(1)
	v_fma_mix_f32 v24, v16, v9, v19 op_sel_hi:[0,1,0]
	v_fma_mix_f32 v25, v16, v10, v22 op_sel_hi:[0,1,0]
	v_fma_mix_f32 v26, v16, v9, v21 op_sel:[0,1,0] op_sel_hi:[0,1,0]
	v_fma_mix_f32 v27, v16, v10, v23 op_sel:[0,1,0] op_sel_hi:[0,1,0]
	s_delay_alu instid0(VALU_DEP_4) | instskip(NEXT) | instid1(VALU_DEP_4)
	v_cndmask_b32_e64 v24, v19, v24, s0
	v_cndmask_b32_e64 v22, v22, v25, s0
	s_delay_alu instid0(VALU_DEP_4) | instskip(NEXT) | instid1(VALU_DEP_4)
	v_cndmask_b32_e64 v25, v21, v26, s0
	v_cndmask_b32_e64 v23, v23, v27, s0
	s_delay_alu instid0(VALU_DEP_4) | instskip(NEXT) | instid1(VALU_DEP_4)
	v_mul_f32_e32 v19, v18, v24
	v_mul_f32_e32 v21, v18, v22
	s_delay_alu instid0(VALU_DEP_4) | instskip(NEXT) | instid1(VALU_DEP_4)
	v_mul_f32_e32 v26, v18, v25
	v_mul_f32_e32 v27, v18, v23
	s_waitcnt vmcnt(0)
	v_fma_mix_f32 v19, v17, v11, v19 op_sel_hi:[0,1,0]
	v_fma_mix_f32 v21, v17, v12, v21 op_sel_hi:[0,1,0]
	v_fma_mix_f32 v26, v17, v11, v26 op_sel:[0,1,0] op_sel_hi:[0,1,0]
	v_fma_mix_f32 v27, v17, v12, v27 op_sel:[0,1,0] op_sel_hi:[0,1,0]
	s_delay_alu instid0(VALU_DEP_4) | instskip(NEXT) | instid1(VALU_DEP_4)
	v_cndmask_b32_e64 v11, v19, v24, s3
	v_cndmask_b32_e64 v12, v21, v22, s3
	s_delay_alu instid0(VALU_DEP_4) | instskip(NEXT) | instid1(VALU_DEP_4)
	v_cndmask_b32_e64 v19, v26, v25, s3
	v_cndmask_b32_e64 v21, v27, v23, s3
	s_delay_alu instid0(VALU_DEP_4) | instskip(NEXT) | instid1(VALU_DEP_4)
	v_fmac_f32_e32 v24, v11, v17
	v_fmac_f32_e32 v22, v12, v17
	s_delay_alu instid0(VALU_DEP_4) | instskip(NEXT) | instid1(VALU_DEP_4)
	v_fmac_f32_e32 v25, v19, v17
	v_fmac_f32_e32 v23, v21, v17
	s_delay_alu instid0(VALU_DEP_4) | instskip(NEXT) | instid1(VALU_DEP_4)
	v_cndmask_b32_e64 v24, v11, v24, s2
	v_cndmask_b32_e64 v26, v12, v22, s2
	s_delay_alu instid0(VALU_DEP_4) | instskip(NEXT) | instid1(VALU_DEP_4)
	v_cndmask_b32_e64 v25, v19, v25, s2
	v_cndmask_b32_e64 v27, v21, v23, s2
	s_delay_alu instid0(VALU_DEP_4) | instskip(NEXT) | instid1(VALU_DEP_4)
	v_fma_mixlo_f16 v22, -v15, v24, v9 op_sel_hi:[0,0,1]
	v_fma_mixlo_f16 v23, -v15, v26, v10 op_sel_hi:[0,0,1]
	s_delay_alu instid0(VALU_DEP_2) | instskip(NEXT) | instid1(VALU_DEP_2)
	v_fma_mixhi_f16 v22, -v15, v25, v9 op_sel:[0,0,1] op_sel_hi:[0,0,1]
	v_fma_mixhi_f16 v23, -v15, v27, v10 op_sel:[0,0,1] op_sel_hi:[0,0,1]
	global_store_b64 v[7:8], v[22:23], off
	s_cbranch_vccnz .LBB2_64
; %bb.72:                               ;   in Loop: Header=BB2_65 Depth=1
	v_perm_b32 v8, v14, v20, 0x5040100
	v_perm_b32 v7, v13, v1, 0x5040100
	global_store_b64 v[5:6], v[7:8], off
	s_branch .LBB2_64
.LBB2_73:                               ;   in Loop: Header=BB2_65 Depth=1
	v_mov_b32_e32 v1, v13
	v_lshrrev_b32_e32 v13, 16, v13
	s_and_not1_b32 vcc_lo, exec_lo, s5
	s_delay_alu instid0(VALU_DEP_1)
	v_cvt_f32_f16_e32 v21, v13
	s_cbranch_vccz .LBB2_67
	s_branch .LBB2_68
.LBB2_74:                               ;   in Loop: Header=BB2_65 Depth=1
	v_mov_b32_e32 v20, v14
	v_lshrrev_b32_e32 v14, 16, v14
	s_and_not1_b32 vcc_lo, exec_lo, s5
	s_delay_alu instid0(VALU_DEP_1)
	v_cvt_f32_f16_e32 v23, v14
	s_cbranch_vccz .LBB2_70
	s_branch .LBB2_71
.LBB2_75:
	s_nop 0
	s_sendmsg sendmsg(MSG_DEALLOC_VGPRS)
	s_endpgm
.LBB2_76:
                                        ; implicit-def: $sgpr9
	s_load_b32 s8, s[2:3], 0x740
	v_mov_b32_e32 v15, s9
	s_branch .LBB2_5
	.section	.rodata,"a",@progbits
	.p2align	6, 0x0
	.amdhsa_kernel _ZN2at6native12_GLOBAL__N_125multi_tensor_apply_kernelINS1_18TensorListMetadataILi3EEENS1_19FusedSgdMathFunctorIN3c104HalfELi3EEEJddPfddbbbS9_S9_EEEvT_T0_DpT1_
		.amdhsa_group_segment_fixed_size 0
		.amdhsa_private_segment_fixed_size 0
		.amdhsa_kernarg_size 3472
		.amdhsa_user_sgpr_count 15
		.amdhsa_user_sgpr_dispatch_ptr 0
		.amdhsa_user_sgpr_queue_ptr 0
		.amdhsa_user_sgpr_kernarg_segment_ptr 1
		.amdhsa_user_sgpr_dispatch_id 0
		.amdhsa_user_sgpr_private_segment_size 0
		.amdhsa_wavefront_size32 1
		.amdhsa_uses_dynamic_stack 0
		.amdhsa_enable_private_segment 0
		.amdhsa_system_sgpr_workgroup_id_x 1
		.amdhsa_system_sgpr_workgroup_id_y 0
		.amdhsa_system_sgpr_workgroup_id_z 0
		.amdhsa_system_sgpr_workgroup_info 0
		.amdhsa_system_vgpr_workitem_id 0
		.amdhsa_next_free_vgpr 34
		.amdhsa_next_free_sgpr 29
		.amdhsa_reserve_vcc 1
		.amdhsa_float_round_mode_32 0
		.amdhsa_float_round_mode_16_64 0
		.amdhsa_float_denorm_mode_32 3
		.amdhsa_float_denorm_mode_16_64 3
		.amdhsa_dx10_clamp 1
		.amdhsa_ieee_mode 1
		.amdhsa_fp16_overflow 0
		.amdhsa_workgroup_processor_mode 1
		.amdhsa_memory_ordered 1
		.amdhsa_forward_progress 0
		.amdhsa_shared_vgpr_count 0
		.amdhsa_exception_fp_ieee_invalid_op 0
		.amdhsa_exception_fp_denorm_src 0
		.amdhsa_exception_fp_ieee_div_zero 0
		.amdhsa_exception_fp_ieee_overflow 0
		.amdhsa_exception_fp_ieee_underflow 0
		.amdhsa_exception_fp_ieee_inexact 0
		.amdhsa_exception_int_div_zero 0
	.end_amdhsa_kernel
	.section	.text._ZN2at6native12_GLOBAL__N_125multi_tensor_apply_kernelINS1_18TensorListMetadataILi3EEENS1_19FusedSgdMathFunctorIN3c104HalfELi3EEEJddPfddbbbS9_S9_EEEvT_T0_DpT1_,"axG",@progbits,_ZN2at6native12_GLOBAL__N_125multi_tensor_apply_kernelINS1_18TensorListMetadataILi3EEENS1_19FusedSgdMathFunctorIN3c104HalfELi3EEEJddPfddbbbS9_S9_EEEvT_T0_DpT1_,comdat
.Lfunc_end2:
	.size	_ZN2at6native12_GLOBAL__N_125multi_tensor_apply_kernelINS1_18TensorListMetadataILi3EEENS1_19FusedSgdMathFunctorIN3c104HalfELi3EEEJddPfddbbbS9_S9_EEEvT_T0_DpT1_, .Lfunc_end2-_ZN2at6native12_GLOBAL__N_125multi_tensor_apply_kernelINS1_18TensorListMetadataILi3EEENS1_19FusedSgdMathFunctorIN3c104HalfELi3EEEJddPfddbbbS9_S9_EEEvT_T0_DpT1_
                                        ; -- End function
	.section	.AMDGPU.csdata,"",@progbits
; Kernel info:
; codeLenInByte = 3880
; NumSgprs: 31
; NumVgprs: 34
; ScratchSize: 0
; MemoryBound: 0
; FloatMode: 240
; IeeeMode: 1
; LDSByteSize: 0 bytes/workgroup (compile time only)
; SGPRBlocks: 3
; VGPRBlocks: 4
; NumSGPRsForWavesPerEU: 31
; NumVGPRsForWavesPerEU: 34
; Occupancy: 16
; WaveLimiterHint : 0
; COMPUTE_PGM_RSRC2:SCRATCH_EN: 0
; COMPUTE_PGM_RSRC2:USER_SGPR: 15
; COMPUTE_PGM_RSRC2:TRAP_HANDLER: 0
; COMPUTE_PGM_RSRC2:TGID_X_EN: 1
; COMPUTE_PGM_RSRC2:TGID_Y_EN: 0
; COMPUTE_PGM_RSRC2:TGID_Z_EN: 0
; COMPUTE_PGM_RSRC2:TIDIG_COMP_CNT: 0
	.section	.text._ZN2at6native12_GLOBAL__N_125multi_tensor_apply_kernelINS1_18TensorListMetadataILi3EEENS1_19FusedSgdMathFunctorIN3c108BFloat16ELi3EEEJddPfddbbbS9_S9_EEEvT_T0_DpT1_,"axG",@progbits,_ZN2at6native12_GLOBAL__N_125multi_tensor_apply_kernelINS1_18TensorListMetadataILi3EEENS1_19FusedSgdMathFunctorIN3c108BFloat16ELi3EEEJddPfddbbbS9_S9_EEEvT_T0_DpT1_,comdat
	.globl	_ZN2at6native12_GLOBAL__N_125multi_tensor_apply_kernelINS1_18TensorListMetadataILi3EEENS1_19FusedSgdMathFunctorIN3c108BFloat16ELi3EEEJddPfddbbbS9_S9_EEEvT_T0_DpT1_ ; -- Begin function _ZN2at6native12_GLOBAL__N_125multi_tensor_apply_kernelINS1_18TensorListMetadataILi3EEENS1_19FusedSgdMathFunctorIN3c108BFloat16ELi3EEEJddPfddbbbS9_S9_EEEvT_T0_DpT1_
	.p2align	8
	.type	_ZN2at6native12_GLOBAL__N_125multi_tensor_apply_kernelINS1_18TensorListMetadataILi3EEENS1_19FusedSgdMathFunctorIN3c108BFloat16ELi3EEEJddPfddbbbS9_S9_EEEvT_T0_DpT1_,@function
_ZN2at6native12_GLOBAL__N_125multi_tensor_apply_kernelINS1_18TensorListMetadataILi3EEENS1_19FusedSgdMathFunctorIN3c108BFloat16ELi3EEEJddPfddbbbS9_S9_EEEvT_T0_DpT1_: ; @_ZN2at6native12_GLOBAL__N_125multi_tensor_apply_kernelINS1_18TensorListMetadataILi3EEENS1_19FusedSgdMathFunctorIN3c108BFloat16ELi3EEEJddPfddbbbS9_S9_EEEvT_T0_DpT1_
; %bb.0:
	s_load_b128 s[16:19], s[0:1], 0xc80
	s_waitcnt lgkmcnt(0)
	s_cmp_eq_u64 s[18:19], 0
	s_cselect_b32 s2, -1, 0
	s_delay_alu instid0(SALU_CYCLE_1)
	s_and_b32 vcc_lo, exec_lo, s2
	s_cbranch_vccnz .LBB3_2
; %bb.1:
	s_load_b32 s2, s[18:19], 0x0
	s_waitcnt lgkmcnt(0)
	v_cmp_neq_f32_e64 s2, s2, 1.0
.LBB3_2:
	s_delay_alu instid0(VALU_DEP_1)
	s_and_not1_b32 vcc_lo, exec_lo, s2
	s_cbranch_vccnz .LBB3_76
; %bb.3:
	v_mov_b32_e32 v1, s15
	s_add_u32 s2, s0, s15
	s_mul_hi_u32 s3, s15, 3
	s_mul_i32 s15, s15, 3
	s_addc_u32 s18, s1, 0
	global_load_u8 v1, v1, s[0:1] offset:1536
	s_clause 0x1
	s_load_b256 s[4:11], s[0:1], 0xc50
	s_load_b64 s[12:13], s[0:1], 0xc70
	s_add_u32 s2, s2, s15
	s_addc_u32 s3, s18, s3
	s_mov_b32 s15, 0
	s_waitcnt lgkmcnt(0)
	s_cmp_eq_u64 s[8:9], 0
	s_waitcnt vmcnt(0)
	v_readfirstlane_b32 s14, v1
	s_cbranch_scc1 .LBB3_77
; %bb.4:
	s_load_b32 s9, s[8:9], 0x0
	s_load_b32 s8, s[2:3], 0x740
	s_waitcnt lgkmcnt(0)
	v_mov_b32_e32 v17, s9
	s_and_not1_b32 vcc_lo, exec_lo, s15
	s_cbranch_vccnz .LBB3_6
.LBB3_5:
	v_cvt_f32_f64_e32 v17, s[10:11]
.LBB3_6:
	s_load_b32 s3, s[0:1], 0xc78
	v_cvt_f32_f64_e32 v18, s[4:5]
	v_cvt_f32_f64_e32 v19, s[6:7]
	;; [unrolled: 1-line block ×3, first 2 shown]
	s_waitcnt lgkmcnt(0)
	s_bitcmp1_b32 s3, 0
	s_cselect_b32 s2, -1, 0
	s_bitcmp1_b32 s3, 8
	s_cselect_b32 s18, -1, 0
	;; [unrolled: 2-line block ×3, first 2 shown]
	s_and_b32 s9, s14, 0xff
	s_delay_alu instid0(SALU_CYCLE_1)
	s_lshl_b32 s9, s9, 3
	s_clause 0x3
	s_load_b64 s[14:15], s[0:1], s9 offset:0x480
	s_load_b64 s[4:5], s[0:1], s9 offset:0x0
	s_load_b64 s[6:7], s[0:1], s9 offset:0x180
	s_load_b64 s[12:13], s[0:1], s9 offset:0x300
	s_ashr_i32 s9, s8, 31
	s_delay_alu instid0(SALU_CYCLE_1) | instskip(SKIP_4) | instid1(SALU_CYCLE_1)
	s_lshl_b64 s[10:11], s[8:9], 16
	s_waitcnt lgkmcnt(0)
	s_sub_u32 s10, s14, s10
	s_subb_u32 s11, s15, s11
	s_lshl_b64 s[22:23], s[8:9], 17
	s_add_u32 s9, s4, s22
	s_addc_u32 s19, s5, s23
	s_and_b32 s4, s9, 7
	s_add_u32 s20, s6, s22
	s_addc_u32 s21, s7, s23
	s_and_b32 s5, s20, 7
	;; [unrolled: 3-line block ×3, first 2 shown]
	s_and_b32 s7, s22, 7
	s_delay_alu instid0(SALU_CYCLE_1) | instskip(NEXT) | instid1(SALU_CYCLE_1)
	s_or_b32 s6, s6, s7
	s_or_b32 s5, s6, s5
	s_delay_alu instid0(SALU_CYCLE_1) | instskip(SKIP_1) | instid1(SALU_CYCLE_1)
	s_or_b32 s4, s5, s4
	s_mov_b32 s5, 0
	s_cmp_eq_u64 s[4:5], 0
	s_mov_b32 s4, -1
	s_cbranch_scc1 .LBB3_62
; %bb.7:
	v_cmp_lt_i64_e64 s4, s[10:11], 1
	s_delay_alu instid0(VALU_DEP_1)
	s_and_b32 vcc_lo, exec_lo, s4
	s_cbranch_vccnz .LBB3_61
; %bb.8:
	s_load_b32 s5, s[0:1], 0xc9c
	v_cmp_gt_i64_e64 s6, 0x10000, s[10:11]
	v_dual_mov_b32 v2, 0 :: v_dual_sub_f32 v21, 1.0, v20
	v_cmp_neq_f32_e64 s4, 0, v18
	s_mov_b32 s24, 0
	s_mov_b64 s[12:13], 0
	s_delay_alu instid0(VALU_DEP_3) | instskip(SKIP_4) | instid1(SALU_CYCLE_1)
	s_and_b32 s6, s6, exec_lo
	s_cselect_b32 s15, s11, 0
	s_cselect_b32 s14, s10, 0x10000
	s_waitcnt lgkmcnt(0)
	s_and_b32 s25, s5, 0xffff
	s_lshl_b32 s26, s25, 1
	s_cmp_lg_u64 s[16:17], 0
	s_mul_i32 s27, s25, 3
	s_cselect_b32 s28, -1, 0
	s_lshl_b32 s29, s25, 2
	s_branch .LBB3_10
.LBB3_9:                                ;   in Loop: Header=BB3_10 Depth=1
	s_or_b32 exec_lo, exec_lo, s5
	s_add_i32 s12, s12, s29
	s_delay_alu instid0(SALU_CYCLE_1) | instskip(NEXT) | instid1(SALU_CYCLE_1)
	s_ashr_i32 s13, s12, 31
	v_cmp_lt_i64_e64 s5, s[12:13], s[14:15]
	s_delay_alu instid0(VALU_DEP_1)
	s_and_b32 vcc_lo, exec_lo, s5
	s_cbranch_vccz .LBB3_61
.LBB3_10:                               ; =>This Inner Loop Header: Depth=1
	v_add_co_u32 v3, s5, s12, v0
	s_delay_alu instid0(VALU_DEP_1) | instskip(SKIP_2) | instid1(VALU_DEP_3)
	v_add_co_ci_u32_e64 v4, null, s13, 0, s5
	v_mov_b32_e32 v11, 0
	v_dual_mov_b32 v12, 0 :: v_dual_mov_b32 v1, 0
	v_cmp_gt_i64_e64 s5, s[14:15], v[3:4]
	s_delay_alu instid0(VALU_DEP_2) | instskip(NEXT) | instid1(VALU_DEP_2)
	v_dual_mov_b32 v14, v12 :: v_dual_mov_b32 v13, v11
	s_and_saveexec_b32 s6, s5
	s_cbranch_execz .LBB3_12
; %bb.11:                               ;   in Loop: Header=BB3_10 Depth=1
	v_lshlrev_b64 v[5:6], 1, v[3:4]
	v_mov_b32_e32 v14, s24
	s_delay_alu instid0(VALU_DEP_2) | instskip(NEXT) | instid1(VALU_DEP_3)
	v_add_co_u32 v7, vcc_lo, s9, v5
	v_add_co_ci_u32_e32 v8, vcc_lo, s19, v6, vcc_lo
	v_add_co_u32 v5, vcc_lo, s20, v5
	v_add_co_ci_u32_e32 v6, vcc_lo, s21, v6, vcc_lo
	global_load_u16 v7, v[7:8], off
	global_load_u16 v1, v[5:6], off
	s_waitcnt vmcnt(1)
	v_and_b32_e32 v13, 0xffff, v7
.LBB3_12:                               ;   in Loop: Header=BB3_10 Depth=1
	s_or_b32 exec_lo, exec_lo, s6
	s_and_saveexec_b32 s6, s5
	s_cbranch_execz .LBB3_14
; %bb.13:                               ;   in Loop: Header=BB3_10 Depth=1
	v_lshlrev_b64 v[5:6], 1, v[3:4]
	v_mov_b32_e32 v12, s24
	s_delay_alu instid0(VALU_DEP_2) | instskip(NEXT) | instid1(VALU_DEP_3)
	v_add_co_u32 v5, vcc_lo, s22, v5
	v_add_co_ci_u32_e32 v6, vcc_lo, s23, v6, vcc_lo
	global_load_u16 v5, v[5:6], off
	s_waitcnt vmcnt(0)
	v_and_b32_e32 v11, 0xffff, v5
.LBB3_14:                               ;   in Loop: Header=BB3_10 Depth=1
	s_or_b32 exec_lo, exec_lo, s6
	v_add_co_u32 v5, vcc_lo, v3, s25
	v_add_co_ci_u32_e32 v6, vcc_lo, 0, v4, vcc_lo
	v_mov_b32_e32 v22, 0
	s_delay_alu instid0(VALU_DEP_2) | instskip(NEXT) | instid1(VALU_DEP_1)
	v_cmp_gt_i64_e64 s6, s[14:15], v[5:6]
	s_and_saveexec_b32 s7, s6
	s_cbranch_execz .LBB3_16
; %bb.15:                               ;   in Loop: Header=BB3_10 Depth=1
	v_lshlrev_b64 v[7:8], 1, v[5:6]
	s_delay_alu instid0(VALU_DEP_1) | instskip(NEXT) | instid1(VALU_DEP_2)
	v_add_co_u32 v9, vcc_lo, s9, v7
	v_add_co_ci_u32_e32 v10, vcc_lo, s19, v8, vcc_lo
	v_add_co_u32 v7, vcc_lo, s20, v7
	v_add_co_ci_u32_e32 v8, vcc_lo, s21, v8, vcc_lo
	global_load_u16 v9, v[9:10], off
	global_load_u16 v22, v[7:8], off
	s_waitcnt vmcnt(1)
	v_lshl_or_b32 v13, v9, 16, v13
.LBB3_16:                               ;   in Loop: Header=BB3_10 Depth=1
	s_or_b32 exec_lo, exec_lo, s7
	s_and_saveexec_b32 s7, s6
	s_cbranch_execz .LBB3_18
; %bb.17:                               ;   in Loop: Header=BB3_10 Depth=1
	v_lshlrev_b64 v[7:8], 1, v[5:6]
	s_delay_alu instid0(VALU_DEP_1) | instskip(NEXT) | instid1(VALU_DEP_2)
	v_add_co_u32 v7, vcc_lo, s22, v7
	v_add_co_ci_u32_e32 v8, vcc_lo, s23, v8, vcc_lo
	global_load_u16 v7, v[7:8], off
	s_waitcnt vmcnt(0)
	v_lshl_or_b32 v11, v7, 16, v11
.LBB3_18:                               ;   in Loop: Header=BB3_10 Depth=1
	s_or_b32 exec_lo, exec_lo, s7
	v_add_co_u32 v7, vcc_lo, v3, s26
	v_add_co_ci_u32_e32 v8, vcc_lo, 0, v4, vcc_lo
	v_mov_b32_e32 v24, 0
	s_delay_alu instid0(VALU_DEP_2) | instskip(NEXT) | instid1(VALU_DEP_1)
	v_cmp_gt_i64_e64 s7, s[14:15], v[7:8]
	s_and_saveexec_b32 s8, s7
	s_cbranch_execz .LBB3_20
; %bb.19:                               ;   in Loop: Header=BB3_10 Depth=1
	v_lshlrev_b64 v[9:10], 1, v[7:8]
	s_delay_alu instid0(VALU_DEP_1) | instskip(NEXT) | instid1(VALU_DEP_2)
	v_add_co_u32 v15, vcc_lo, s9, v9
	v_add_co_ci_u32_e32 v16, vcc_lo, s19, v10, vcc_lo
	v_add_co_u32 v9, vcc_lo, s20, v9
	v_add_co_ci_u32_e32 v10, vcc_lo, s21, v10, vcc_lo
	global_load_u16 v15, v[15:16], off
	global_load_u16 v24, v[9:10], off
	s_waitcnt vmcnt(1)
	v_or_b32_e32 v14, v15, v14
.LBB3_20:                               ;   in Loop: Header=BB3_10 Depth=1
	s_or_b32 exec_lo, exec_lo, s8
	s_and_saveexec_b32 s8, s7
	s_cbranch_execz .LBB3_22
; %bb.21:                               ;   in Loop: Header=BB3_10 Depth=1
	v_lshlrev_b64 v[9:10], 1, v[7:8]
	s_delay_alu instid0(VALU_DEP_1) | instskip(NEXT) | instid1(VALU_DEP_2)
	v_add_co_u32 v9, vcc_lo, s22, v9
	v_add_co_ci_u32_e32 v10, vcc_lo, s23, v10, vcc_lo
	global_load_u16 v9, v[9:10], off
	s_waitcnt vmcnt(0)
	v_or_b32_e32 v12, v9, v12
.LBB3_22:                               ;   in Loop: Header=BB3_10 Depth=1
	s_or_b32 exec_lo, exec_lo, s8
	v_add_co_u32 v9, vcc_lo, v3, s27
	v_add_co_ci_u32_e32 v10, vcc_lo, 0, v4, vcc_lo
	v_mov_b32_e32 v25, 0
	s_delay_alu instid0(VALU_DEP_2) | instskip(NEXT) | instid1(VALU_DEP_1)
	v_cmp_gt_i64_e64 s8, s[14:15], v[9:10]
	s_and_saveexec_b32 s13, s8
	s_cbranch_execnz .LBB3_26
; %bb.23:                               ;   in Loop: Header=BB3_10 Depth=1
	s_or_b32 exec_lo, exec_lo, s13
	s_and_saveexec_b32 s13, s8
	s_cbranch_execnz .LBB3_27
.LBB3_24:                               ;   in Loop: Header=BB3_10 Depth=1
	s_or_b32 exec_lo, exec_lo, s13
	s_waitcnt vmcnt(0)
	v_lshlrev_b32_e32 v23, 16, v1
	s_and_not1_b32 vcc_lo, exec_lo, s28
	s_cbranch_vccnz .LBB3_28
.LBB3_25:                               ;   in Loop: Header=BB3_10 Depth=1
	s_load_b32 s13, s[16:17], 0x0
	s_waitcnt lgkmcnt(0)
	v_div_scale_f32 v1, null, s13, s13, v23
	s_delay_alu instid0(VALU_DEP_1) | instskip(SKIP_2) | instid1(VALU_DEP_1)
	v_rcp_f32_e32 v15, v1
	s_waitcnt_depctr 0xfff
	v_fma_f32 v16, -v1, v15, 1.0
	v_fmac_f32_e32 v15, v16, v15
	v_div_scale_f32 v16, vcc_lo, v23, s13, v23
	s_delay_alu instid0(VALU_DEP_1) | instskip(NEXT) | instid1(VALU_DEP_1)
	v_mul_f32_e32 v26, v16, v15
	v_fma_f32 v27, -v1, v26, v16
	s_delay_alu instid0(VALU_DEP_1) | instskip(NEXT) | instid1(VALU_DEP_1)
	v_fmac_f32_e32 v26, v27, v15
	v_fma_f32 v1, -v1, v26, v16
	s_delay_alu instid0(VALU_DEP_1) | instskip(NEXT) | instid1(VALU_DEP_1)
	v_div_fmas_f32 v1, v1, v15, v26
	v_div_fixup_f32 v23, v1, s13, v23
	s_delay_alu instid0(VALU_DEP_1) | instskip(SKIP_1) | instid1(VALU_DEP_2)
	v_bfe_u32 v1, v23, 16, 1
	v_cmp_o_f32_e32 vcc_lo, v23, v23
	v_add3_u32 v1, v23, v1, 0x7fff
	s_delay_alu instid0(VALU_DEP_1) | instskip(NEXT) | instid1(VALU_DEP_1)
	v_lshrrev_b32_e32 v1, 16, v1
	v_cndmask_b32_e32 v1, 0x7fc0, v1, vcc_lo
	s_delay_alu instid0(VALU_DEP_1)
	v_dual_mov_b32 v16, v2 :: v_dual_mov_b32 v15, v1
	s_branch .LBB3_29
.LBB3_26:                               ;   in Loop: Header=BB3_10 Depth=1
	v_lshlrev_b64 v[15:16], 1, v[9:10]
	v_mov_b32_e32 v23, 0
	s_delay_alu instid0(VALU_DEP_2) | instskip(NEXT) | instid1(VALU_DEP_3)
	v_add_co_u32 v25, vcc_lo, s9, v15
	v_add_co_ci_u32_e32 v26, vcc_lo, s19, v16, vcc_lo
	v_add_co_u32 v15, vcc_lo, s20, v15
	v_add_co_ci_u32_e32 v16, vcc_lo, s21, v16, vcc_lo
	global_load_d16_hi_b16 v23, v[25:26], off
	global_load_u16 v25, v[15:16], off
	s_waitcnt vmcnt(1)
	v_or_b32_e32 v14, v23, v14
	s_or_b32 exec_lo, exec_lo, s13
	s_and_saveexec_b32 s13, s8
	s_cbranch_execz .LBB3_24
.LBB3_27:                               ;   in Loop: Header=BB3_10 Depth=1
	v_lshlrev_b64 v[15:16], 1, v[9:10]
	v_mov_b32_e32 v23, 0
	s_delay_alu instid0(VALU_DEP_2) | instskip(NEXT) | instid1(VALU_DEP_3)
	v_add_co_u32 v15, vcc_lo, s22, v15
	v_add_co_ci_u32_e32 v16, vcc_lo, s23, v16, vcc_lo
	global_load_d16_hi_b16 v23, v[15:16], off
	s_waitcnt vmcnt(0)
	v_or_b32_e32 v12, v23, v12
	s_or_b32 exec_lo, exec_lo, s13
	v_lshlrev_b32_e32 v23, 16, v1
	s_and_not1_b32 vcc_lo, exec_lo, s28
	s_cbranch_vccz .LBB3_25
.LBB3_28:                               ;   in Loop: Header=BB3_10 Depth=1
	v_dual_mov_b32 v16, s24 :: v_dual_and_b32 v15, 0xffff, v1
.LBB3_29:                               ;   in Loop: Header=BB3_10 Depth=1
	v_lshlrev_b32_e32 v1, 16, v22
	v_and_b32_e32 v22, 0xffff, v24
	v_lshlrev_b32_e32 v24, 16, v25
	s_and_not1_b32 vcc_lo, exec_lo, s28
	s_delay_alu instid0(VALU_DEP_3) | instskip(NEXT) | instid1(VALU_DEP_2)
	v_or_b32_e32 v25, v15, v1
	v_or3_b32 v1, v24, v22, v16
	s_delay_alu instid0(VALU_DEP_2)
	v_or3_b32 v15, 0, 0, v25
	v_and_b32_e32 v22, 0xffff0000, v25
	s_cbranch_vccnz .LBB3_31
; %bb.30:                               ;   in Loop: Header=BB3_10 Depth=1
	s_load_b32 s13, s[16:17], 0x0
	s_delay_alu instid0(VALU_DEP_2) | instskip(SKIP_3) | instid1(VALU_DEP_2)
	v_and_b32_e32 v15, 0xffff, v15
	s_waitcnt lgkmcnt(0)
	v_div_scale_f32 v16, null, s13, s13, v22
	v_div_scale_f32 v26, vcc_lo, v22, s13, v22
	v_rcp_f32_e32 v24, v16
	s_waitcnt_depctr 0xfff
	v_fma_f32 v25, -v16, v24, 1.0
	s_delay_alu instid0(VALU_DEP_1) | instskip(NEXT) | instid1(VALU_DEP_1)
	v_fmac_f32_e32 v24, v25, v24
	v_mul_f32_e32 v25, v26, v24
	s_delay_alu instid0(VALU_DEP_1) | instskip(NEXT) | instid1(VALU_DEP_1)
	v_fma_f32 v27, -v16, v25, v26
	v_fmac_f32_e32 v25, v27, v24
	s_delay_alu instid0(VALU_DEP_1) | instskip(NEXT) | instid1(VALU_DEP_1)
	v_fma_f32 v16, -v16, v25, v26
	v_div_fmas_f32 v16, v16, v24, v25
	s_delay_alu instid0(VALU_DEP_1) | instskip(NEXT) | instid1(VALU_DEP_1)
	v_div_fixup_f32 v22, v16, s13, v22
	v_bfe_u32 v16, v22, 16, 1
	v_cmp_o_f32_e32 vcc_lo, v22, v22
	s_delay_alu instid0(VALU_DEP_2) | instskip(NEXT) | instid1(VALU_DEP_1)
	v_add3_u32 v16, v22, v16, 0x7fff
	v_and_b32_e32 v16, 0xffff0000, v16
	s_delay_alu instid0(VALU_DEP_1) | instskip(NEXT) | instid1(VALU_DEP_1)
	v_cndmask_b32_e32 v16, 0x7fc00000, v16, vcc_lo
	v_or_b32_e32 v15, v16, v15
.LBB3_31:                               ;   in Loop: Header=BB3_10 Depth=1
	s_delay_alu instid0(VALU_DEP_1) | instskip(SKIP_1) | instid1(VALU_DEP_1)
	v_alignbit_b32 v16, v1, v15, 16
	s_and_not1_b32 vcc_lo, exec_lo, s28
	v_and_b32_e32 v24, 0xffff0000, v16
	s_cbranch_vccnz .LBB3_33
; %bb.32:                               ;   in Loop: Header=BB3_10 Depth=1
	s_load_b32 s13, s[16:17], 0x0
	v_and_b32_e32 v1, 0xffff0000, v1
	s_waitcnt lgkmcnt(0)
	v_div_scale_f32 v16, null, s13, s13, v24
	v_div_scale_f32 v27, vcc_lo, v24, s13, v24
	s_delay_alu instid0(VALU_DEP_2) | instskip(SKIP_2) | instid1(VALU_DEP_1)
	v_rcp_f32_e32 v25, v16
	s_waitcnt_depctr 0xfff
	v_fma_f32 v26, -v16, v25, 1.0
	v_fmac_f32_e32 v25, v26, v25
	s_delay_alu instid0(VALU_DEP_1) | instskip(NEXT) | instid1(VALU_DEP_1)
	v_mul_f32_e32 v26, v27, v25
	v_fma_f32 v28, -v16, v26, v27
	s_delay_alu instid0(VALU_DEP_1) | instskip(NEXT) | instid1(VALU_DEP_1)
	v_fmac_f32_e32 v26, v28, v25
	v_fma_f32 v16, -v16, v26, v27
	s_delay_alu instid0(VALU_DEP_1) | instskip(NEXT) | instid1(VALU_DEP_1)
	v_div_fmas_f32 v16, v16, v25, v26
	v_div_fixup_f32 v24, v16, s13, v24
	s_delay_alu instid0(VALU_DEP_1) | instskip(SKIP_1) | instid1(VALU_DEP_2)
	v_bfe_u32 v16, v24, 16, 1
	v_cmp_o_f32_e32 vcc_lo, v24, v24
	v_add3_u32 v16, v24, v16, 0x7fff
	s_delay_alu instid0(VALU_DEP_1) | instskip(NEXT) | instid1(VALU_DEP_1)
	v_lshrrev_b32_e32 v16, 16, v16
	v_cndmask_b32_e32 v16, 0x7fc0, v16, vcc_lo
	s_delay_alu instid0(VALU_DEP_1)
	v_or_b32_e32 v1, v16, v1
.LBB3_33:                               ;   in Loop: Header=BB3_10 Depth=1
	s_delay_alu instid0(VALU_DEP_1)
	v_and_b32_e32 v25, 0xffff0000, v1
	s_and_not1_b32 vcc_lo, exec_lo, s28
	s_cbranch_vccnz .LBB3_35
; %bb.34:                               ;   in Loop: Header=BB3_10 Depth=1
	s_load_b32 s13, s[16:17], 0x0
	v_and_b32_e32 v1, 0xffff, v1
	s_waitcnt lgkmcnt(0)
	v_div_scale_f32 v16, null, s13, s13, v25
	v_div_scale_f32 v28, vcc_lo, v25, s13, v25
	s_delay_alu instid0(VALU_DEP_2) | instskip(SKIP_2) | instid1(VALU_DEP_1)
	v_rcp_f32_e32 v26, v16
	s_waitcnt_depctr 0xfff
	v_fma_f32 v27, -v16, v26, 1.0
	v_fmac_f32_e32 v26, v27, v26
	s_delay_alu instid0(VALU_DEP_1) | instskip(NEXT) | instid1(VALU_DEP_1)
	v_mul_f32_e32 v27, v28, v26
	v_fma_f32 v29, -v16, v27, v28
	s_delay_alu instid0(VALU_DEP_1) | instskip(NEXT) | instid1(VALU_DEP_1)
	v_fmac_f32_e32 v27, v29, v26
	v_fma_f32 v16, -v16, v27, v28
	s_delay_alu instid0(VALU_DEP_1) | instskip(NEXT) | instid1(VALU_DEP_1)
	v_div_fmas_f32 v16, v16, v26, v27
	v_div_fixup_f32 v25, v16, s13, v25
	s_delay_alu instid0(VALU_DEP_1) | instskip(SKIP_1) | instid1(VALU_DEP_2)
	v_bfe_u32 v16, v25, 16, 1
	v_cmp_o_f32_e32 vcc_lo, v25, v25
	v_add3_u32 v16, v25, v16, 0x7fff
	s_delay_alu instid0(VALU_DEP_1) | instskip(NEXT) | instid1(VALU_DEP_1)
	v_and_b32_e32 v16, 0xffff0000, v16
	v_cndmask_b32_e32 v16, 0x7fc00000, v16, vcc_lo
	s_delay_alu instid0(VALU_DEP_1)
	v_or_b32_e32 v1, v16, v1
.LBB3_35:                               ;   in Loop: Header=BB3_10 Depth=1
	v_lshlrev_b32_e32 v26, 16, v13
	v_cndmask_b32_e64 v16, v23, -v23, s18
	s_delay_alu instid0(VALU_DEP_1) | instskip(NEXT) | instid1(VALU_DEP_1)
	v_fma_f32 v23, v18, v26, v16
	v_cndmask_b32_e64 v23, v16, v23, s4
	v_lshlrev_b32_e32 v16, 16, v11
	s_delay_alu instid0(VALU_DEP_2) | instskip(NEXT) | instid1(VALU_DEP_1)
	v_mul_f32_e32 v27, v21, v23
	v_fmac_f32_e32 v27, v19, v16
	s_delay_alu instid0(VALU_DEP_1)
	v_cndmask_b32_e64 v16, v27, v23, s3
	s_and_saveexec_b32 s13, s5
	s_cbranch_execz .LBB3_37
; %bb.36:                               ;   in Loop: Header=BB3_10 Depth=1
	s_delay_alu instid0(VALU_DEP_1) | instskip(NEXT) | instid1(VALU_DEP_1)
	v_fmac_f32_e32 v23, v16, v19
	v_cndmask_b32_e64 v23, v16, v23, s2
	s_delay_alu instid0(VALU_DEP_1) | instskip(NEXT) | instid1(VALU_DEP_1)
	v_fma_f32 v23, -v17, v23, v26
	v_bfe_u32 v26, v23, 16, 1
	v_cmp_o_f32_e32 vcc_lo, v23, v23
	s_delay_alu instid0(VALU_DEP_2) | instskip(NEXT) | instid1(VALU_DEP_1)
	v_add3_u32 v26, v23, v26, 0x7fff
	v_lshrrev_b32_e32 v28, 16, v26
	v_lshlrev_b64 v[26:27], 1, v[3:4]
	s_delay_alu instid0(VALU_DEP_2) | instskip(NEXT) | instid1(VALU_DEP_2)
	v_cndmask_b32_e32 v23, 0x7fc0, v28, vcc_lo
	v_add_co_u32 v26, vcc_lo, s9, v26
	s_delay_alu instid0(VALU_DEP_3)
	v_add_co_ci_u32_e32 v27, vcc_lo, s19, v27, vcc_lo
	global_store_b16 v[26:27], v23, off
.LBB3_37:                               ;   in Loop: Header=BB3_10 Depth=1
	s_or_b32 exec_lo, exec_lo, s13
	v_and_b32_e32 v23, 0xffff0000, v13
	v_cndmask_b32_e64 v22, v22, -v22, s18
	s_delay_alu instid0(VALU_DEP_1) | instskip(NEXT) | instid1(VALU_DEP_1)
	v_fma_f32 v26, v18, v23, v22
	v_cndmask_b32_e64 v26, v22, v26, s4
	s_delay_alu instid0(VALU_DEP_1) | instskip(NEXT) | instid1(VALU_DEP_1)
	v_dual_mul_f32 v27, v21, v26 :: v_dual_and_b32 v22, 0xffff0000, v11
	v_fmac_f32_e32 v27, v19, v22
	s_delay_alu instid0(VALU_DEP_1)
	v_cndmask_b32_e64 v22, v27, v26, s3
	s_and_saveexec_b32 s13, s6
	s_cbranch_execz .LBB3_39
; %bb.38:                               ;   in Loop: Header=BB3_10 Depth=1
	s_delay_alu instid0(VALU_DEP_1) | instskip(NEXT) | instid1(VALU_DEP_1)
	v_fmac_f32_e32 v26, v22, v19
	v_cndmask_b32_e64 v26, v22, v26, s2
	s_delay_alu instid0(VALU_DEP_1) | instskip(NEXT) | instid1(VALU_DEP_1)
	v_fma_f32 v23, -v17, v26, v23
	v_bfe_u32 v26, v23, 16, 1
	v_cmp_o_f32_e32 vcc_lo, v23, v23
	s_delay_alu instid0(VALU_DEP_2) | instskip(NEXT) | instid1(VALU_DEP_1)
	v_add3_u32 v26, v23, v26, 0x7fff
	v_lshrrev_b32_e32 v28, 16, v26
	v_lshlrev_b64 v[26:27], 1, v[5:6]
	s_delay_alu instid0(VALU_DEP_2) | instskip(NEXT) | instid1(VALU_DEP_2)
	v_cndmask_b32_e32 v23, 0x7fc0, v28, vcc_lo
	v_add_co_u32 v26, vcc_lo, s9, v26
	s_delay_alu instid0(VALU_DEP_3)
	v_add_co_ci_u32_e32 v27, vcc_lo, s19, v27, vcc_lo
	global_store_b16 v[26:27], v23, off
.LBB3_39:                               ;   in Loop: Header=BB3_10 Depth=1
	s_or_b32 exec_lo, exec_lo, s13
	v_alignbit_b32 v13, v14, v13, 16
	v_cndmask_b32_e64 v23, v24, -v24, s18
	v_alignbit_b32 v11, v12, v11, 16
	s_delay_alu instid0(VALU_DEP_3) | instskip(NEXT) | instid1(VALU_DEP_2)
	v_and_b32_e32 v13, 0xffff0000, v13
	v_and_b32_e32 v11, 0xffff0000, v11
	s_delay_alu instid0(VALU_DEP_2) | instskip(NEXT) | instid1(VALU_DEP_1)
	v_fma_f32 v24, v18, v13, v23
	v_cndmask_b32_e64 v23, v23, v24, s4
	s_delay_alu instid0(VALU_DEP_1) | instskip(NEXT) | instid1(VALU_DEP_1)
	v_mul_f32_e32 v24, v21, v23
	v_fmac_f32_e32 v24, v19, v11
	s_delay_alu instid0(VALU_DEP_1)
	v_cndmask_b32_e64 v11, v24, v23, s3
	s_and_saveexec_b32 s13, s7
	s_cbranch_execz .LBB3_41
; %bb.40:                               ;   in Loop: Header=BB3_10 Depth=1
	s_delay_alu instid0(VALU_DEP_1) | instskip(NEXT) | instid1(VALU_DEP_1)
	v_fmac_f32_e32 v23, v11, v19
	v_cndmask_b32_e64 v23, v11, v23, s2
	s_delay_alu instid0(VALU_DEP_1) | instskip(NEXT) | instid1(VALU_DEP_1)
	v_fma_f32 v13, -v17, v23, v13
	v_bfe_u32 v23, v13, 16, 1
	v_cmp_o_f32_e32 vcc_lo, v13, v13
	s_delay_alu instid0(VALU_DEP_2) | instskip(NEXT) | instid1(VALU_DEP_1)
	v_add3_u32 v23, v13, v23, 0x7fff
	v_lshrrev_b32_e32 v26, 16, v23
	v_lshlrev_b64 v[23:24], 1, v[7:8]
	s_delay_alu instid0(VALU_DEP_2) | instskip(NEXT) | instid1(VALU_DEP_2)
	v_cndmask_b32_e32 v13, 0x7fc0, v26, vcc_lo
	v_add_co_u32 v23, vcc_lo, s9, v23
	s_delay_alu instid0(VALU_DEP_3)
	v_add_co_ci_u32_e32 v24, vcc_lo, s19, v24, vcc_lo
	global_store_b16 v[23:24], v13, off
.LBB3_41:                               ;   in Loop: Header=BB3_10 Depth=1
	s_or_b32 exec_lo, exec_lo, s13
	v_and_b32_e32 v13, 0xffff0000, v14
	v_cndmask_b32_e64 v14, v25, -v25, s18
	s_delay_alu instid0(VALU_DEP_1) | instskip(NEXT) | instid1(VALU_DEP_1)
	v_fma_f32 v23, v18, v13, v14
	v_cndmask_b32_e64 v14, v14, v23, s4
	s_delay_alu instid0(VALU_DEP_1) | instskip(NEXT) | instid1(VALU_DEP_1)
	v_dual_mul_f32 v23, v21, v14 :: v_dual_and_b32 v12, 0xffff0000, v12
	v_fmac_f32_e32 v23, v19, v12
	s_delay_alu instid0(VALU_DEP_1)
	v_cndmask_b32_e64 v12, v23, v14, s3
	s_and_saveexec_b32 s13, s8
	s_cbranch_execz .LBB3_43
; %bb.42:                               ;   in Loop: Header=BB3_10 Depth=1
	s_delay_alu instid0(VALU_DEP_1) | instskip(NEXT) | instid1(VALU_DEP_1)
	v_fmac_f32_e32 v14, v12, v19
	v_cndmask_b32_e64 v14, v12, v14, s2
	s_delay_alu instid0(VALU_DEP_1) | instskip(NEXT) | instid1(VALU_DEP_1)
	v_fma_f32 v23, -v17, v14, v13
	v_bfe_u32 v13, v23, 16, 1
	v_cmp_o_f32_e32 vcc_lo, v23, v23
	s_delay_alu instid0(VALU_DEP_2) | instskip(NEXT) | instid1(VALU_DEP_1)
	v_add3_u32 v13, v23, v13, 0x7fff
	v_lshrrev_b32_e32 v24, 16, v13
	v_lshlrev_b64 v[13:14], 1, v[9:10]
	s_delay_alu instid0(VALU_DEP_2) | instskip(NEXT) | instid1(VALU_DEP_2)
	v_cndmask_b32_e32 v23, 0x7fc0, v24, vcc_lo
	v_add_co_u32 v13, vcc_lo, s9, v13
	s_delay_alu instid0(VALU_DEP_3)
	v_add_co_ci_u32_e32 v14, vcc_lo, s19, v14, vcc_lo
	global_store_b16 v[13:14], v23, off
.LBB3_43:                               ;   in Loop: Header=BB3_10 Depth=1
	s_or_b32 exec_lo, exec_lo, s13
	s_delay_alu instid0(SALU_CYCLE_1)
	s_and_not1_b32 vcc_lo, exec_lo, s28
	s_cbranch_vccnz .LBB3_50
; %bb.44:                               ;   in Loop: Header=BB3_10 Depth=1
	s_and_saveexec_b32 s13, s5
	s_cbranch_execnz .LBB3_58
; %bb.45:                               ;   in Loop: Header=BB3_10 Depth=1
	s_or_b32 exec_lo, exec_lo, s13
	s_and_saveexec_b32 s13, s6
	s_cbranch_execnz .LBB3_59
.LBB3_46:                               ;   in Loop: Header=BB3_10 Depth=1
	s_or_b32 exec_lo, exec_lo, s13
	s_and_saveexec_b32 s13, s7
	s_cbranch_execnz .LBB3_60
.LBB3_47:                               ;   in Loop: Header=BB3_10 Depth=1
	s_or_b32 exec_lo, exec_lo, s13
	s_and_saveexec_b32 s13, s8
	s_cbranch_execz .LBB3_49
.LBB3_48:                               ;   in Loop: Header=BB3_10 Depth=1
	v_lshlrev_b64 v[13:14], 1, v[9:10]
	s_delay_alu instid0(VALU_DEP_1) | instskip(NEXT) | instid1(VALU_DEP_2)
	v_add_co_u32 v13, vcc_lo, s20, v13
	v_add_co_ci_u32_e32 v14, vcc_lo, s21, v14, vcc_lo
	global_store_d16_hi_b16 v[13:14], v1, off
.LBB3_49:                               ;   in Loop: Header=BB3_10 Depth=1
	s_or_b32 exec_lo, exec_lo, s13
.LBB3_50:                               ;   in Loop: Header=BB3_10 Depth=1
	s_and_saveexec_b32 s13, s5
	s_cbranch_execnz .LBB3_54
; %bb.51:                               ;   in Loop: Header=BB3_10 Depth=1
	s_or_b32 exec_lo, exec_lo, s13
	s_and_saveexec_b32 s5, s6
	s_cbranch_execnz .LBB3_55
.LBB3_52:                               ;   in Loop: Header=BB3_10 Depth=1
	s_or_b32 exec_lo, exec_lo, s5
	s_and_saveexec_b32 s5, s7
	s_cbranch_execnz .LBB3_56
.LBB3_53:                               ;   in Loop: Header=BB3_10 Depth=1
	s_or_b32 exec_lo, exec_lo, s5
	s_and_saveexec_b32 s5, s8
	s_cbranch_execz .LBB3_9
	s_branch .LBB3_57
.LBB3_54:                               ;   in Loop: Header=BB3_10 Depth=1
	v_bfe_u32 v1, v16, 16, 1
	v_lshlrev_b64 v[3:4], 1, v[3:4]
	v_cmp_o_f32_e32 vcc_lo, v16, v16
	s_delay_alu instid0(VALU_DEP_3) | instskip(NEXT) | instid1(VALU_DEP_1)
	v_add3_u32 v1, v16, v1, 0x7fff
	v_lshrrev_b32_e32 v1, 16, v1
	s_delay_alu instid0(VALU_DEP_1)
	v_cndmask_b32_e32 v1, 0x7fc0, v1, vcc_lo
	v_add_co_u32 v3, vcc_lo, s22, v3
	v_add_co_ci_u32_e32 v4, vcc_lo, s23, v4, vcc_lo
	global_store_b16 v[3:4], v1, off
	s_or_b32 exec_lo, exec_lo, s13
	s_and_saveexec_b32 s5, s6
	s_cbranch_execz .LBB3_52
.LBB3_55:                               ;   in Loop: Header=BB3_10 Depth=1
	v_bfe_u32 v1, v22, 16, 1
	v_lshlrev_b64 v[3:4], 1, v[5:6]
	v_cmp_o_f32_e32 vcc_lo, v22, v22
	s_delay_alu instid0(VALU_DEP_3) | instskip(NEXT) | instid1(VALU_DEP_1)
	v_add3_u32 v1, v22, v1, 0x7fff
	v_lshrrev_b32_e32 v1, 16, v1
	s_delay_alu instid0(VALU_DEP_1)
	v_cndmask_b32_e32 v1, 0x7fc0, v1, vcc_lo
	v_add_co_u32 v3, vcc_lo, s22, v3
	v_add_co_ci_u32_e32 v4, vcc_lo, s23, v4, vcc_lo
	global_store_b16 v[3:4], v1, off
	s_or_b32 exec_lo, exec_lo, s5
	s_and_saveexec_b32 s5, s7
	s_cbranch_execz .LBB3_53
.LBB3_56:                               ;   in Loop: Header=BB3_10 Depth=1
	v_bfe_u32 v1, v11, 16, 1
	v_lshlrev_b64 v[3:4], 1, v[7:8]
	v_cmp_o_f32_e32 vcc_lo, v11, v11
	s_delay_alu instid0(VALU_DEP_3) | instskip(NEXT) | instid1(VALU_DEP_1)
	v_add3_u32 v1, v11, v1, 0x7fff
	v_lshrrev_b32_e32 v1, 16, v1
	s_delay_alu instid0(VALU_DEP_1)
	v_cndmask_b32_e32 v1, 0x7fc0, v1, vcc_lo
	v_add_co_u32 v3, vcc_lo, s22, v3
	v_add_co_ci_u32_e32 v4, vcc_lo, s23, v4, vcc_lo
	global_store_b16 v[3:4], v1, off
	s_or_b32 exec_lo, exec_lo, s5
	s_and_saveexec_b32 s5, s8
	s_cbranch_execz .LBB3_9
.LBB3_57:                               ;   in Loop: Header=BB3_10 Depth=1
	v_bfe_u32 v1, v12, 16, 1
	v_lshlrev_b64 v[3:4], 1, v[9:10]
	v_cmp_o_f32_e32 vcc_lo, v12, v12
	s_delay_alu instid0(VALU_DEP_3) | instskip(NEXT) | instid1(VALU_DEP_1)
	v_add3_u32 v1, v12, v1, 0x7fff
	v_lshrrev_b32_e32 v1, 16, v1
	s_delay_alu instid0(VALU_DEP_1)
	v_cndmask_b32_e32 v1, 0x7fc0, v1, vcc_lo
	v_add_co_u32 v3, vcc_lo, s22, v3
	v_add_co_ci_u32_e32 v4, vcc_lo, s23, v4, vcc_lo
	global_store_b16 v[3:4], v1, off
	s_branch .LBB3_9
.LBB3_58:                               ;   in Loop: Header=BB3_10 Depth=1
	v_lshlrev_b64 v[13:14], 1, v[3:4]
	s_delay_alu instid0(VALU_DEP_1) | instskip(NEXT) | instid1(VALU_DEP_2)
	v_add_co_u32 v13, vcc_lo, s20, v13
	v_add_co_ci_u32_e32 v14, vcc_lo, s21, v14, vcc_lo
	global_store_b16 v[13:14], v15, off
	s_or_b32 exec_lo, exec_lo, s13
	s_and_saveexec_b32 s13, s6
	s_cbranch_execz .LBB3_46
.LBB3_59:                               ;   in Loop: Header=BB3_10 Depth=1
	v_lshlrev_b64 v[13:14], 1, v[5:6]
	s_delay_alu instid0(VALU_DEP_1) | instskip(NEXT) | instid1(VALU_DEP_2)
	v_add_co_u32 v13, vcc_lo, s20, v13
	v_add_co_ci_u32_e32 v14, vcc_lo, s21, v14, vcc_lo
	global_store_d16_hi_b16 v[13:14], v15, off
	s_or_b32 exec_lo, exec_lo, s13
	s_and_saveexec_b32 s13, s7
	s_cbranch_execz .LBB3_47
.LBB3_60:                               ;   in Loop: Header=BB3_10 Depth=1
	v_lshlrev_b64 v[13:14], 1, v[7:8]
	s_delay_alu instid0(VALU_DEP_1) | instskip(NEXT) | instid1(VALU_DEP_2)
	v_add_co_u32 v13, vcc_lo, s20, v13
	v_add_co_ci_u32_e32 v14, vcc_lo, s21, v14, vcc_lo
	global_store_b16 v[13:14], v1, off
	s_or_b32 exec_lo, exec_lo, s13
	s_and_saveexec_b32 s13, s8
	s_cbranch_execnz .LBB3_48
	s_branch .LBB3_49
.LBB3_61:
	s_mov_b32 s4, 0
.LBB3_62:
	s_delay_alu instid0(SALU_CYCLE_1)
	s_and_not1_b32 vcc_lo, exec_lo, s4
	s_cbranch_vccnz .LBB3_76
; %bb.63:
	v_dual_mov_b32 v2, 0 :: v_dual_lshlrev_b32 v1, 2, v0
	s_mov_b32 s4, 0
	s_mov_b32 s5, exec_lo
	s_delay_alu instid0(VALU_DEP_1)
	v_cmpx_gt_i64_e64 s[10:11], v[1:2]
	s_cbranch_execz .LBB3_76
; %bb.64:
	s_load_b32 s1, s[0:1], 0xc9c
	v_mov_b32_e32 v1, v2
	v_cmp_neq_f32_e64 s0, 0, v18
	v_sub_f32_e32 v15, 1.0, v20
	s_cmp_lg_u64 s[16:17], 0
	s_cselect_b32 s5, -1, 0
	s_waitcnt lgkmcnt(0)
	s_and_b32 s6, s1, 0xffff
	s_branch .LBB3_66
.LBB3_65:                               ;   in Loop: Header=BB3_66 Depth=1
	v_bfe_u32 v5, v12, 16, 1
	v_bfe_u32 v6, v13, 16, 1
	v_add_nc_u32_e32 v1, s6, v0
	v_bfe_u32 v7, v14, 16, 1
	v_cmp_o_f32_e32 vcc_lo, v12, v12
	v_add3_u32 v0, v12, v5, 0x7fff
	v_add3_u32 v9, v13, v6, 0x7fff
	v_bfe_u32 v8, v11, 16, 1
	v_add3_u32 v7, v14, v7, 0x7fff
	v_lshlrev_b64 v[5:6], 2, v[1:2]
	v_lshrrev_b32_e32 v0, 16, v0
	v_and_b32_e32 v9, 0xffff0000, v9
	v_add3_u32 v8, v11, v8, 0x7fff
	v_lshrrev_b32_e32 v7, 16, v7
	v_cmp_lt_u32_e64 s1, 0x3fff, v1
	v_cndmask_b32_e32 v0, 0x7fc0, v0, vcc_lo
	v_cmp_o_f32_e32 vcc_lo, v13, v13
	v_and_b32_e32 v8, 0xffff0000, v8
	v_cndmask_b32_e32 v9, 0x7fc00000, v9, vcc_lo
	v_cmp_o_f32_e32 vcc_lo, v14, v14
	s_delay_alu instid0(VALU_DEP_2)
	v_or_b32_e32 v0, v9, v0
	v_cndmask_b32_e32 v7, 0x7fc0, v7, vcc_lo
	v_cmp_o_f32_e32 vcc_lo, v11, v11
	v_cndmask_b32_e32 v8, 0x7fc00000, v8, vcc_lo
	v_cmp_le_u64_e32 vcc_lo, s[10:11], v[5:6]
	v_or3_b32 v5, v0, 0, 0
	v_mov_b32_e32 v0, v1
	v_mov_b32_e32 v1, v2
	v_or3_b32 v6, 0, v7, v8
	s_or_b32 s1, s1, vcc_lo
	s_delay_alu instid0(SALU_CYCLE_1) | instskip(SKIP_2) | instid1(SALU_CYCLE_1)
	s_and_b32 s1, exec_lo, s1
	global_store_b64 v[3:4], v[5:6], off
	s_or_b32 s4, s1, s4
	s_and_not1_b32 exec_lo, exec_lo, s4
	s_cbranch_execz .LBB3_76
.LBB3_66:                               ; =>This Inner Loop Header: Depth=1
	v_lshlrev_b64 v[3:4], 3, v[0:1]
	s_delay_alu instid0(VALU_DEP_1) | instskip(NEXT) | instid1(VALU_DEP_2)
	v_add_co_u32 v5, vcc_lo, s20, v3
	v_add_co_ci_u32_e32 v6, vcc_lo, s21, v4, vcc_lo
	v_add_co_u32 v7, vcc_lo, s9, v3
	v_add_co_ci_u32_e32 v8, vcc_lo, s19, v4, vcc_lo
	v_add_co_u32 v3, vcc_lo, s22, v3
	global_load_b64 v[9:10], v[5:6], off
	v_add_co_ci_u32_e32 v4, vcc_lo, s23, v4, vcc_lo
	global_load_b64 v[13:14], v[7:8], off
	global_load_b64 v[11:12], v[3:4], off
	s_and_not1_b32 vcc_lo, exec_lo, s5
	s_waitcnt vmcnt(2)
	v_lshlrev_b32_e32 v1, 16, v9
	s_cbranch_vccnz .LBB3_68
; %bb.67:                               ;   in Loop: Header=BB3_66 Depth=1
	global_load_b32 v16, v2, s[16:17]
	v_and_b32_e32 v9, 0xffff0000, v9
	s_waitcnt vmcnt(0)
	v_div_scale_f32 v20, null, v16, v16, v1
	v_div_scale_f32 v23, vcc_lo, v1, v16, v1
	s_delay_alu instid0(VALU_DEP_2) | instskip(SKIP_2) | instid1(VALU_DEP_1)
	v_rcp_f32_e32 v21, v20
	s_waitcnt_depctr 0xfff
	v_fma_f32 v22, -v20, v21, 1.0
	v_fmac_f32_e32 v21, v22, v21
	s_delay_alu instid0(VALU_DEP_1) | instskip(NEXT) | instid1(VALU_DEP_1)
	v_mul_f32_e32 v22, v23, v21
	v_fma_f32 v24, -v20, v22, v23
	s_delay_alu instid0(VALU_DEP_1) | instskip(NEXT) | instid1(VALU_DEP_1)
	v_fmac_f32_e32 v22, v24, v21
	v_fma_f32 v20, -v20, v22, v23
	s_delay_alu instid0(VALU_DEP_1) | instskip(NEXT) | instid1(VALU_DEP_1)
	v_div_fmas_f32 v20, v20, v21, v22
	v_div_fixup_f32 v1, v20, v16, v1
	s_delay_alu instid0(VALU_DEP_1) | instskip(SKIP_1) | instid1(VALU_DEP_2)
	v_bfe_u32 v16, v1, 16, 1
	v_cmp_o_f32_e32 vcc_lo, v1, v1
	v_add3_u32 v16, v1, v16, 0x7fff
	s_delay_alu instid0(VALU_DEP_1) | instskip(NEXT) | instid1(VALU_DEP_1)
	v_lshrrev_b32_e32 v16, 16, v16
	v_cndmask_b32_e32 v16, 0x7fc0, v16, vcc_lo
	s_delay_alu instid0(VALU_DEP_1)
	v_or_b32_e32 v9, v16, v9
.LBB3_68:                               ;   in Loop: Header=BB3_66 Depth=1
	s_delay_alu instid0(VALU_DEP_1)
	v_and_b32_e32 v16, 0xffff0000, v9
	s_and_not1_b32 vcc_lo, exec_lo, s5
	s_cbranch_vccnz .LBB3_70
; %bb.69:                               ;   in Loop: Header=BB3_66 Depth=1
	global_load_b32 v20, v2, s[16:17]
	v_and_b32_e32 v9, 0xffff, v9
	s_waitcnt vmcnt(0)
	v_div_scale_f32 v21, null, v20, v20, v16
	v_div_scale_f32 v24, vcc_lo, v16, v20, v16
	s_delay_alu instid0(VALU_DEP_2) | instskip(SKIP_2) | instid1(VALU_DEP_1)
	v_rcp_f32_e32 v22, v21
	s_waitcnt_depctr 0xfff
	v_fma_f32 v23, -v21, v22, 1.0
	v_fmac_f32_e32 v22, v23, v22
	s_delay_alu instid0(VALU_DEP_1) | instskip(NEXT) | instid1(VALU_DEP_1)
	v_mul_f32_e32 v23, v24, v22
	v_fma_f32 v25, -v21, v23, v24
	s_delay_alu instid0(VALU_DEP_1) | instskip(NEXT) | instid1(VALU_DEP_1)
	v_fmac_f32_e32 v23, v25, v22
	v_fma_f32 v21, -v21, v23, v24
	s_delay_alu instid0(VALU_DEP_1) | instskip(NEXT) | instid1(VALU_DEP_1)
	v_div_fmas_f32 v21, v21, v22, v23
	v_div_fixup_f32 v16, v21, v20, v16
	s_delay_alu instid0(VALU_DEP_1) | instskip(SKIP_1) | instid1(VALU_DEP_2)
	v_bfe_u32 v20, v16, 16, 1
	v_cmp_o_f32_e32 vcc_lo, v16, v16
	v_add3_u32 v20, v16, v20, 0x7fff
	s_delay_alu instid0(VALU_DEP_1) | instskip(NEXT) | instid1(VALU_DEP_1)
	v_and_b32_e32 v20, 0xffff0000, v20
	v_cndmask_b32_e32 v20, 0x7fc00000, v20, vcc_lo
	s_delay_alu instid0(VALU_DEP_1)
	v_or_b32_e32 v9, v20, v9
.LBB3_70:                               ;   in Loop: Header=BB3_66 Depth=1
	s_delay_alu instid0(VALU_DEP_1) | instskip(SKIP_1) | instid1(VALU_DEP_1)
	v_alignbit_b32 v20, v10, v9, 16
	s_and_not1_b32 vcc_lo, exec_lo, s5
	v_and_b32_e32 v20, 0xffff0000, v20
	s_cbranch_vccnz .LBB3_72
; %bb.71:                               ;   in Loop: Header=BB3_66 Depth=1
	global_load_b32 v21, v2, s[16:17]
	v_and_b32_e32 v10, 0xffff0000, v10
	s_waitcnt vmcnt(0)
	v_div_scale_f32 v22, null, v21, v21, v20
	v_div_scale_f32 v25, vcc_lo, v20, v21, v20
	s_delay_alu instid0(VALU_DEP_2) | instskip(SKIP_2) | instid1(VALU_DEP_1)
	v_rcp_f32_e32 v23, v22
	s_waitcnt_depctr 0xfff
	v_fma_f32 v24, -v22, v23, 1.0
	v_fmac_f32_e32 v23, v24, v23
	s_delay_alu instid0(VALU_DEP_1) | instskip(NEXT) | instid1(VALU_DEP_1)
	v_mul_f32_e32 v24, v25, v23
	v_fma_f32 v26, -v22, v24, v25
	s_delay_alu instid0(VALU_DEP_1) | instskip(NEXT) | instid1(VALU_DEP_1)
	v_fmac_f32_e32 v24, v26, v23
	v_fma_f32 v22, -v22, v24, v25
	s_delay_alu instid0(VALU_DEP_1) | instskip(NEXT) | instid1(VALU_DEP_1)
	v_div_fmas_f32 v22, v22, v23, v24
	v_div_fixup_f32 v20, v22, v21, v20
	s_delay_alu instid0(VALU_DEP_1) | instskip(SKIP_1) | instid1(VALU_DEP_2)
	v_bfe_u32 v21, v20, 16, 1
	v_cmp_o_f32_e32 vcc_lo, v20, v20
	v_add3_u32 v21, v20, v21, 0x7fff
	s_delay_alu instid0(VALU_DEP_1) | instskip(NEXT) | instid1(VALU_DEP_1)
	v_lshrrev_b32_e32 v21, 16, v21
	v_cndmask_b32_e32 v21, 0x7fc0, v21, vcc_lo
	s_delay_alu instid0(VALU_DEP_1)
	v_or_b32_e32 v10, v21, v10
.LBB3_72:                               ;   in Loop: Header=BB3_66 Depth=1
	s_delay_alu instid0(VALU_DEP_1)
	v_and_b32_e32 v21, 0xffff0000, v10
	s_and_not1_b32 vcc_lo, exec_lo, s5
	s_cbranch_vccnz .LBB3_74
; %bb.73:                               ;   in Loop: Header=BB3_66 Depth=1
	global_load_b32 v22, v2, s[16:17]
	v_and_b32_e32 v10, 0xffff, v10
	s_waitcnt vmcnt(0)
	v_div_scale_f32 v23, null, v22, v22, v21
	v_div_scale_f32 v26, vcc_lo, v21, v22, v21
	s_delay_alu instid0(VALU_DEP_2) | instskip(SKIP_2) | instid1(VALU_DEP_1)
	v_rcp_f32_e32 v24, v23
	s_waitcnt_depctr 0xfff
	v_fma_f32 v25, -v23, v24, 1.0
	v_fmac_f32_e32 v24, v25, v24
	s_delay_alu instid0(VALU_DEP_1) | instskip(NEXT) | instid1(VALU_DEP_1)
	v_mul_f32_e32 v25, v26, v24
	v_fma_f32 v27, -v23, v25, v26
	s_delay_alu instid0(VALU_DEP_1) | instskip(NEXT) | instid1(VALU_DEP_1)
	v_fmac_f32_e32 v25, v27, v24
	v_fma_f32 v23, -v23, v25, v26
	s_delay_alu instid0(VALU_DEP_1) | instskip(NEXT) | instid1(VALU_DEP_1)
	v_div_fmas_f32 v23, v23, v24, v25
	v_div_fixup_f32 v21, v23, v22, v21
	s_delay_alu instid0(VALU_DEP_1) | instskip(SKIP_1) | instid1(VALU_DEP_2)
	v_bfe_u32 v22, v21, 16, 1
	v_cmp_o_f32_e32 vcc_lo, v21, v21
	v_add3_u32 v22, v21, v22, 0x7fff
	s_delay_alu instid0(VALU_DEP_1) | instskip(NEXT) | instid1(VALU_DEP_1)
	v_and_b32_e32 v22, 0xffff0000, v22
	v_cndmask_b32_e32 v22, 0x7fc00000, v22, vcc_lo
	s_delay_alu instid0(VALU_DEP_1)
	v_or_b32_e32 v10, v22, v10
.LBB3_74:                               ;   in Loop: Header=BB3_66 Depth=1
	s_waitcnt vmcnt(1)
	v_lshlrev_b32_e32 v22, 16, v13
	v_cndmask_b32_e64 v1, v1, -v1, s18
	v_and_b32_e32 v23, 0xffff0000, v13
	v_cndmask_b32_e64 v16, v16, -v16, s18
	v_alignbit_b32 v13, v14, v13, 16
	v_cndmask_b32_e64 v20, v20, -v20, s18
	v_fma_f32 v24, v18, v22, v1
	s_delay_alu instid0(VALU_DEP_1) | instskip(NEXT) | instid1(VALU_DEP_4)
	v_cndmask_b32_e64 v1, v1, v24, s0
	v_and_b32_e32 v24, 0xffff0000, v13
	s_waitcnt vmcnt(0)
	v_lshlrev_b32_e32 v13, 16, v11
	v_and_b32_e32 v28, 0xffff0000, v11
	v_and_b32_e32 v25, 0xffff0000, v14
	v_cndmask_b32_e64 v14, v21, -v21, s18
	v_fma_f32 v21, v18, v23, v16
	v_fma_f32 v27, v18, v24, v20
	v_alignbit_b32 v11, v12, v11, 16
	v_and_b32_e32 v12, 0xffff0000, v12
	v_fma_f32 v26, v18, v25, v14
	v_cndmask_b32_e64 v16, v16, v21, s0
	v_mul_f32_e32 v21, v15, v1
	v_cndmask_b32_e64 v20, v20, v27, s0
	v_and_b32_e32 v11, 0xffff0000, v11
	v_cndmask_b32_e64 v26, v14, v26, s0
	v_mul_f32_e32 v14, v15, v16
	v_fmac_f32_e32 v21, v19, v13
	v_mul_f32_e32 v29, v15, v20
	s_delay_alu instid0(VALU_DEP_4) | instskip(NEXT) | instid1(VALU_DEP_4)
	v_mul_f32_e32 v27, v15, v26
	v_fmac_f32_e32 v14, v19, v28
	s_delay_alu instid0(VALU_DEP_3) | instskip(NEXT) | instid1(VALU_DEP_2)
	v_fmac_f32_e32 v29, v19, v11
	v_cndmask_b32_e64 v13, v14, v16, s3
	s_delay_alu instid0(VALU_DEP_4) | instskip(SKIP_1) | instid1(VALU_DEP_4)
	v_fmac_f32_e32 v27, v19, v12
	v_cndmask_b32_e64 v12, v21, v1, s3
	v_cndmask_b32_e64 v14, v29, v20, s3
	s_delay_alu instid0(VALU_DEP_4) | instskip(NEXT) | instid1(VALU_DEP_4)
	v_fmac_f32_e32 v16, v13, v19
	v_cndmask_b32_e64 v11, v27, v26, s3
	s_delay_alu instid0(VALU_DEP_4) | instskip(NEXT) | instid1(VALU_DEP_3)
	v_fmac_f32_e32 v1, v12, v19
	v_cndmask_b32_e64 v16, v13, v16, s2
	s_delay_alu instid0(VALU_DEP_2) | instskip(NEXT) | instid1(VALU_DEP_2)
	v_cndmask_b32_e64 v1, v12, v1, s2
	v_fma_f32 v16, -v17, v16, v23
	s_delay_alu instid0(VALU_DEP_2) | instskip(NEXT) | instid1(VALU_DEP_2)
	v_fma_f32 v1, -v17, v1, v22
	v_bfe_u32 v23, v16, 16, 1
	s_delay_alu instid0(VALU_DEP_2) | instskip(SKIP_1) | instid1(VALU_DEP_3)
	v_bfe_u32 v22, v1, 16, 1
	v_cmp_o_f32_e32 vcc_lo, v1, v1
	v_add3_u32 v23, v16, v23, 0x7fff
	s_delay_alu instid0(VALU_DEP_3) | instskip(NEXT) | instid1(VALU_DEP_2)
	v_add3_u32 v22, v1, v22, 0x7fff
	v_and_b32_e32 v23, 0xffff0000, v23
	s_delay_alu instid0(VALU_DEP_2) | instskip(NEXT) | instid1(VALU_DEP_1)
	v_lshrrev_b32_e32 v22, 16, v22
	v_dual_fmac_f32 v26, v11, v19 :: v_dual_cndmask_b32 v1, 0x7fc0, v22
	s_delay_alu instid0(VALU_DEP_1) | instskip(SKIP_1) | instid1(VALU_DEP_2)
	v_cndmask_b32_e64 v21, v11, v26, s2
	v_cmp_o_f32_e32 vcc_lo, v16, v16
	v_fma_f32 v21, -v17, v21, v25
	v_cndmask_b32_e32 v16, 0x7fc00000, v23, vcc_lo
	s_delay_alu instid0(VALU_DEP_2) | instskip(SKIP_1) | instid1(VALU_DEP_3)
	v_cmp_o_f32_e32 vcc_lo, v21, v21
	v_fmac_f32_e32 v20, v14, v19
	v_or_b32_e32 v1, v16, v1
	s_delay_alu instid0(VALU_DEP_2) | instskip(NEXT) | instid1(VALU_DEP_1)
	v_cndmask_b32_e64 v20, v14, v20, s2
	v_fma_f32 v20, -v17, v20, v24
	v_bfe_u32 v24, v21, 16, 1
	s_delay_alu instid0(VALU_DEP_2) | instskip(NEXT) | instid1(VALU_DEP_2)
	v_bfe_u32 v25, v20, 16, 1
	v_add3_u32 v24, v21, v24, 0x7fff
	s_delay_alu instid0(VALU_DEP_2) | instskip(NEXT) | instid1(VALU_DEP_2)
	v_add3_u32 v25, v20, v25, 0x7fff
	v_and_b32_e32 v24, 0xffff0000, v24
	s_delay_alu instid0(VALU_DEP_2) | instskip(NEXT) | instid1(VALU_DEP_2)
	v_lshrrev_b32_e32 v22, 16, v25
	v_cndmask_b32_e32 v21, 0x7fc00000, v24, vcc_lo
	v_cmp_o_f32_e32 vcc_lo, v20, v20
	s_delay_alu instid0(VALU_DEP_3) | instskip(SKIP_1) | instid1(VALU_DEP_1)
	v_cndmask_b32_e32 v20, 0x7fc0, v22, vcc_lo
	s_and_not1_b32 vcc_lo, exec_lo, s5
	v_or3_b32 v21, 0, v20, v21
	v_or3_b32 v20, v1, 0, 0
	global_store_b64 v[7:8], v[20:21], off
	s_cbranch_vccnz .LBB3_65
; %bb.75:                               ;   in Loop: Header=BB3_66 Depth=1
	global_store_b64 v[5:6], v[9:10], off
	s_branch .LBB3_65
.LBB3_76:
	s_nop 0
	s_sendmsg sendmsg(MSG_DEALLOC_VGPRS)
	s_endpgm
.LBB3_77:
                                        ; implicit-def: $sgpr9
	s_load_b32 s8, s[2:3], 0x740
	v_mov_b32_e32 v17, s9
	s_branch .LBB3_5
	.section	.rodata,"a",@progbits
	.p2align	6, 0x0
	.amdhsa_kernel _ZN2at6native12_GLOBAL__N_125multi_tensor_apply_kernelINS1_18TensorListMetadataILi3EEENS1_19FusedSgdMathFunctorIN3c108BFloat16ELi3EEEJddPfddbbbS9_S9_EEEvT_T0_DpT1_
		.amdhsa_group_segment_fixed_size 0
		.amdhsa_private_segment_fixed_size 0
		.amdhsa_kernarg_size 3472
		.amdhsa_user_sgpr_count 15
		.amdhsa_user_sgpr_dispatch_ptr 0
		.amdhsa_user_sgpr_queue_ptr 0
		.amdhsa_user_sgpr_kernarg_segment_ptr 1
		.amdhsa_user_sgpr_dispatch_id 0
		.amdhsa_user_sgpr_private_segment_size 0
		.amdhsa_wavefront_size32 1
		.amdhsa_uses_dynamic_stack 0
		.amdhsa_enable_private_segment 0
		.amdhsa_system_sgpr_workgroup_id_x 1
		.amdhsa_system_sgpr_workgroup_id_y 0
		.amdhsa_system_sgpr_workgroup_id_z 0
		.amdhsa_system_sgpr_workgroup_info 0
		.amdhsa_system_vgpr_workitem_id 0
		.amdhsa_next_free_vgpr 30
		.amdhsa_next_free_sgpr 30
		.amdhsa_reserve_vcc 1
		.amdhsa_float_round_mode_32 0
		.amdhsa_float_round_mode_16_64 0
		.amdhsa_float_denorm_mode_32 3
		.amdhsa_float_denorm_mode_16_64 3
		.amdhsa_dx10_clamp 1
		.amdhsa_ieee_mode 1
		.amdhsa_fp16_overflow 0
		.amdhsa_workgroup_processor_mode 1
		.amdhsa_memory_ordered 1
		.amdhsa_forward_progress 0
		.amdhsa_shared_vgpr_count 0
		.amdhsa_exception_fp_ieee_invalid_op 0
		.amdhsa_exception_fp_denorm_src 0
		.amdhsa_exception_fp_ieee_div_zero 0
		.amdhsa_exception_fp_ieee_overflow 0
		.amdhsa_exception_fp_ieee_underflow 0
		.amdhsa_exception_fp_ieee_inexact 0
		.amdhsa_exception_int_div_zero 0
	.end_amdhsa_kernel
	.section	.text._ZN2at6native12_GLOBAL__N_125multi_tensor_apply_kernelINS1_18TensorListMetadataILi3EEENS1_19FusedSgdMathFunctorIN3c108BFloat16ELi3EEEJddPfddbbbS9_S9_EEEvT_T0_DpT1_,"axG",@progbits,_ZN2at6native12_GLOBAL__N_125multi_tensor_apply_kernelINS1_18TensorListMetadataILi3EEENS1_19FusedSgdMathFunctorIN3c108BFloat16ELi3EEEJddPfddbbbS9_S9_EEEvT_T0_DpT1_,comdat
.Lfunc_end3:
	.size	_ZN2at6native12_GLOBAL__N_125multi_tensor_apply_kernelINS1_18TensorListMetadataILi3EEENS1_19FusedSgdMathFunctorIN3c108BFloat16ELi3EEEJddPfddbbbS9_S9_EEEvT_T0_DpT1_, .Lfunc_end3-_ZN2at6native12_GLOBAL__N_125multi_tensor_apply_kernelINS1_18TensorListMetadataILi3EEENS1_19FusedSgdMathFunctorIN3c108BFloat16ELi3EEEJddPfddbbbS9_S9_EEEvT_T0_DpT1_
                                        ; -- End function
	.section	.AMDGPU.csdata,"",@progbits
; Kernel info:
; codeLenInByte = 5164
; NumSgprs: 32
; NumVgprs: 30
; ScratchSize: 0
; MemoryBound: 0
; FloatMode: 240
; IeeeMode: 1
; LDSByteSize: 0 bytes/workgroup (compile time only)
; SGPRBlocks: 3
; VGPRBlocks: 3
; NumSGPRsForWavesPerEU: 32
; NumVGPRsForWavesPerEU: 30
; Occupancy: 16
; WaveLimiterHint : 0
; COMPUTE_PGM_RSRC2:SCRATCH_EN: 0
; COMPUTE_PGM_RSRC2:USER_SGPR: 15
; COMPUTE_PGM_RSRC2:TRAP_HANDLER: 0
; COMPUTE_PGM_RSRC2:TGID_X_EN: 1
; COMPUTE_PGM_RSRC2:TGID_Y_EN: 0
; COMPUTE_PGM_RSRC2:TGID_Z_EN: 0
; COMPUTE_PGM_RSRC2:TIDIG_COMP_CNT: 0
	.section	.text._ZN2at6native12_GLOBAL__N_125multi_tensor_apply_kernelINS1_18TensorListMetadataILi2EEENS1_19FusedSgdMathFunctorIdLi2EEEJddPfddbbbS7_S7_EEEvT_T0_DpT1_,"axG",@progbits,_ZN2at6native12_GLOBAL__N_125multi_tensor_apply_kernelINS1_18TensorListMetadataILi2EEENS1_19FusedSgdMathFunctorIdLi2EEEJddPfddbbbS7_S7_EEEvT_T0_DpT1_,comdat
	.globl	_ZN2at6native12_GLOBAL__N_125multi_tensor_apply_kernelINS1_18TensorListMetadataILi2EEENS1_19FusedSgdMathFunctorIdLi2EEEJddPfddbbbS7_S7_EEEvT_T0_DpT1_ ; -- Begin function _ZN2at6native12_GLOBAL__N_125multi_tensor_apply_kernelINS1_18TensorListMetadataILi2EEENS1_19FusedSgdMathFunctorIdLi2EEEJddPfddbbbS7_S7_EEEvT_T0_DpT1_
	.p2align	8
	.type	_ZN2at6native12_GLOBAL__N_125multi_tensor_apply_kernelINS1_18TensorListMetadataILi2EEENS1_19FusedSgdMathFunctorIdLi2EEEJddPfddbbbS7_S7_EEEvT_T0_DpT1_,@function
_ZN2at6native12_GLOBAL__N_125multi_tensor_apply_kernelINS1_18TensorListMetadataILi2EEENS1_19FusedSgdMathFunctorIdLi2EEEJddPfddbbbS7_S7_EEEvT_T0_DpT1_: ; @_ZN2at6native12_GLOBAL__N_125multi_tensor_apply_kernelINS1_18TensorListMetadataILi2EEENS1_19FusedSgdMathFunctorIdLi2EEEJddPfddbbbS7_S7_EEEvT_T0_DpT1_
; %bb.0:
	s_load_b128 s[8:11], s[0:1], 0xc80
	s_waitcnt lgkmcnt(0)
	s_cmp_eq_u64 s[10:11], 0
	s_cselect_b32 s2, -1, 0
	s_delay_alu instid0(SALU_CYCLE_1)
	s_and_b32 vcc_lo, exec_lo, s2
	s_cbranch_vccnz .LBB4_2
; %bb.1:
	s_load_b32 s2, s[10:11], 0x0
	s_waitcnt lgkmcnt(0)
	v_cmp_neq_f32_e64 s2, s2, 1.0
.LBB4_2:
	s_delay_alu instid0(VALU_DEP_1)
	s_and_not1_b32 vcc_lo, exec_lo, s2
	s_cbranch_vccnz .LBB4_66
; %bb.3:
	v_mov_b32_e32 v1, s15
	s_add_u32 s2, s0, s15
	s_mul_hi_u32 s3, s15, 3
	s_mul_i32 s15, s15, 3
	s_addc_u32 s10, s1, 0
	global_load_u8 v1, v1, s[0:1] offset:1536
	s_load_b128 s[4:7], s[0:1], 0xc60
	s_add_u32 s2, s2, s15
	s_addc_u32 s3, s10, s3
	s_load_b32 s14, s[2:3], 0x740
	s_waitcnt lgkmcnt(0)
	v_dual_mov_b32 v22, s7 :: v_dual_mov_b32 v21, s6
	s_cmp_eq_u64 s[4:5], 0
	s_mov_b32 s7, 0
	s_waitcnt vmcnt(0)
	v_readfirstlane_b32 s3, v1
	s_cbranch_scc1 .LBB4_5
; %bb.4:
	s_load_b32 s2, s[4:5], 0x0
	s_waitcnt lgkmcnt(0)
	v_cvt_f64_f32_e32 v[21:22], s2
.LBB4_5:
	s_clause 0x1
	s_load_b32 s2, s[0:1], 0xc78
	s_load_b64 s[10:11], s[0:1], 0xc50
	s_waitcnt lgkmcnt(0)
	s_bitcmp1_b32 s2, 8
	s_cselect_b32 s2, -1, 0
	s_and_b32 s3, s3, 0xff
	s_ashr_i32 s15, s14, 31
	s_lshl_b32 s3, s3, 3
	s_clause 0x2
	s_load_b64 s[4:5], s[0:1], s3 offset:0x400
	s_load_b64 s[16:17], s[0:1], s3 offset:0x0
	;; [unrolled: 1-line block ×3, first 2 shown]
	s_lshl_b64 s[12:13], s[14:15], 16
	s_mov_b32 s3, -1
	s_waitcnt lgkmcnt(0)
	s_sub_u32 s12, s4, s12
	s_subb_u32 s13, s5, s13
	s_lshl_b64 s[14:15], s[14:15], 19
	s_mov_b32 s5, s7
	s_add_u32 s18, s16, s14
	s_addc_u32 s19, s17, s15
	s_and_b32 s6, s18, 31
	s_add_u32 s20, s20, s14
	s_addc_u32 s21, s21, s15
	s_and_b32 s14, s4, 3
	s_and_b32 s4, s20, 31
	s_mov_b32 s15, s7
	s_delay_alu instid0(SALU_CYCLE_1) | instskip(NEXT) | instid1(SALU_CYCLE_1)
	s_or_b64 s[4:5], s[14:15], s[4:5]
	s_or_b64 s[4:5], s[4:5], s[6:7]
	s_delay_alu instid0(SALU_CYCLE_1)
	s_cmp_eq_u64 s[4:5], 0
	s_cbranch_scc1 .LBB4_52
; %bb.6:
	v_cmp_lt_i64_e64 s3, s[12:13], 1
	s_delay_alu instid0(VALU_DEP_1)
	s_and_b32 vcc_lo, exec_lo, s3
	s_cbranch_vccnz .LBB4_51
; %bb.7:
	v_cmp_neq_f64_e64 s3, s[10:11], 0
	s_load_b32 s4, s[0:1], 0xc9c
	v_cmp_gt_i64_e64 s5, 0x10000, s[12:13]
	s_mov_b64 s[16:17], 0
	s_delay_alu instid0(VALU_DEP_1) | instskip(SKIP_4) | instid1(SALU_CYCLE_1)
	s_and_b32 s5, s5, exec_lo
	s_cselect_b32 s15, s13, 0
	s_cselect_b32 s14, s12, 0x10000
	s_waitcnt lgkmcnt(0)
	s_and_b32 s22, s4, 0xffff
	s_lshl_b32 s23, s22, 1
	s_cmp_lg_u64 s[8:9], 0
	s_mul_i32 s25, s22, 3
	s_cselect_b32 s24, -1, 0
	s_lshl_b32 s26, s22, 2
	s_branch .LBB4_10
.LBB4_8:                                ;   in Loop: Header=BB4_10 Depth=1
	s_or_b32 exec_lo, exec_lo, s4
.LBB4_9:                                ;   in Loop: Header=BB4_10 Depth=1
	s_add_i32 s16, s16, s26
	s_delay_alu instid0(SALU_CYCLE_1) | instskip(NEXT) | instid1(SALU_CYCLE_1)
	s_ashr_i32 s17, s16, 31
	v_cmp_lt_i64_e64 s4, s[16:17], s[14:15]
	s_delay_alu instid0(VALU_DEP_1)
	s_and_b32 vcc_lo, exec_lo, s4
	s_cbranch_vccz .LBB4_51
.LBB4_10:                               ; =>This Inner Loop Header: Depth=1
	v_add_co_u32 v1, s4, s16, v0
	s_delay_alu instid0(VALU_DEP_1) | instskip(SKIP_3) | instid1(VALU_DEP_3)
	v_add_co_ci_u32_e64 v2, null, s17, 0, s4
	s_waitcnt vmcnt(0)
	v_mov_b32_e32 v3, 0
	v_mov_b32_e32 v4, 0
	v_cmp_gt_i64_e64 s4, s[14:15], v[1:2]
	s_delay_alu instid0(VALU_DEP_2) | instskip(NEXT) | instid1(VALU_DEP_2)
	v_dual_mov_b32 v18, v4 :: v_dual_mov_b32 v17, v3
	s_and_saveexec_b32 s5, s4
	s_cbranch_execz .LBB4_12
; %bb.11:                               ;   in Loop: Header=BB4_10 Depth=1
	v_lshlrev_b64 v[5:6], 3, v[1:2]
	s_delay_alu instid0(VALU_DEP_1) | instskip(NEXT) | instid1(VALU_DEP_2)
	v_add_co_u32 v5, vcc_lo, s18, v5
	v_add_co_ci_u32_e32 v6, vcc_lo, s19, v6, vcc_lo
	global_load_b64 v[17:18], v[5:6], off
.LBB4_12:                               ;   in Loop: Header=BB4_10 Depth=1
	s_or_b32 exec_lo, exec_lo, s5
	s_and_saveexec_b32 s5, s4
	s_cbranch_execz .LBB4_14
; %bb.13:                               ;   in Loop: Header=BB4_10 Depth=1
	v_lshlrev_b64 v[3:4], 3, v[1:2]
	s_delay_alu instid0(VALU_DEP_1) | instskip(NEXT) | instid1(VALU_DEP_2)
	v_add_co_u32 v3, vcc_lo, s20, v3
	v_add_co_ci_u32_e32 v4, vcc_lo, s21, v4, vcc_lo
	global_load_b64 v[3:4], v[3:4], off
.LBB4_14:                               ;   in Loop: Header=BB4_10 Depth=1
	s_or_b32 exec_lo, exec_lo, s5
	v_add_co_u32 v5, vcc_lo, v1, s22
	v_add_co_ci_u32_e32 v6, vcc_lo, 0, v2, vcc_lo
	v_mov_b32_e32 v7, 0
	v_mov_b32_e32 v8, 0
	s_delay_alu instid0(VALU_DEP_3) | instskip(NEXT) | instid1(VALU_DEP_2)
	v_cmp_gt_i64_e64 s5, s[14:15], v[5:6]
	v_dual_mov_b32 v20, v8 :: v_dual_mov_b32 v19, v7
	s_delay_alu instid0(VALU_DEP_2)
	s_and_saveexec_b32 s6, s5
	s_cbranch_execz .LBB4_16
; %bb.15:                               ;   in Loop: Header=BB4_10 Depth=1
	v_lshlrev_b64 v[9:10], 3, v[5:6]
	s_delay_alu instid0(VALU_DEP_1) | instskip(NEXT) | instid1(VALU_DEP_2)
	v_add_co_u32 v9, vcc_lo, s18, v9
	v_add_co_ci_u32_e32 v10, vcc_lo, s19, v10, vcc_lo
	global_load_b64 v[19:20], v[9:10], off
.LBB4_16:                               ;   in Loop: Header=BB4_10 Depth=1
	s_or_b32 exec_lo, exec_lo, s6
	s_and_saveexec_b32 s6, s5
	s_cbranch_execz .LBB4_18
; %bb.17:                               ;   in Loop: Header=BB4_10 Depth=1
	v_lshlrev_b64 v[7:8], 3, v[5:6]
	s_delay_alu instid0(VALU_DEP_1) | instskip(NEXT) | instid1(VALU_DEP_2)
	v_add_co_u32 v7, vcc_lo, s20, v7
	v_add_co_ci_u32_e32 v8, vcc_lo, s21, v8, vcc_lo
	global_load_b64 v[7:8], v[7:8], off
.LBB4_18:                               ;   in Loop: Header=BB4_10 Depth=1
	s_or_b32 exec_lo, exec_lo, s6
	v_add_co_u32 v9, vcc_lo, v1, s23
	v_add_co_ci_u32_e32 v10, vcc_lo, 0, v2, vcc_lo
	v_mov_b32_e32 v11, 0
	v_mov_b32_e32 v12, 0
	s_delay_alu instid0(VALU_DEP_3) | instskip(NEXT) | instid1(VALU_DEP_2)
	v_cmp_gt_i64_e64 s6, s[14:15], v[9:10]
	v_dual_mov_b32 v24, v12 :: v_dual_mov_b32 v23, v11
	s_delay_alu instid0(VALU_DEP_2)
	s_and_saveexec_b32 s7, s6
	s_cbranch_execz .LBB4_20
; %bb.19:                               ;   in Loop: Header=BB4_10 Depth=1
	v_lshlrev_b64 v[13:14], 3, v[9:10]
	s_delay_alu instid0(VALU_DEP_1) | instskip(NEXT) | instid1(VALU_DEP_2)
	v_add_co_u32 v13, vcc_lo, s18, v13
	v_add_co_ci_u32_e32 v14, vcc_lo, s19, v14, vcc_lo
	global_load_b64 v[23:24], v[13:14], off
.LBB4_20:                               ;   in Loop: Header=BB4_10 Depth=1
	s_or_b32 exec_lo, exec_lo, s7
	s_and_saveexec_b32 s7, s6
	s_cbranch_execz .LBB4_22
; %bb.21:                               ;   in Loop: Header=BB4_10 Depth=1
	v_lshlrev_b64 v[11:12], 3, v[9:10]
	s_delay_alu instid0(VALU_DEP_1) | instskip(NEXT) | instid1(VALU_DEP_2)
	v_add_co_u32 v11, vcc_lo, s20, v11
	v_add_co_ci_u32_e32 v12, vcc_lo, s21, v12, vcc_lo
	global_load_b64 v[11:12], v[11:12], off
.LBB4_22:                               ;   in Loop: Header=BB4_10 Depth=1
	s_or_b32 exec_lo, exec_lo, s7
	v_add_co_u32 v13, vcc_lo, v1, s25
	v_add_co_ci_u32_e32 v14, vcc_lo, 0, v2, vcc_lo
	v_mov_b32_e32 v15, 0
	v_mov_b32_e32 v16, 0
	s_delay_alu instid0(VALU_DEP_3) | instskip(NEXT) | instid1(VALU_DEP_2)
	v_cmp_gt_i64_e64 s7, s[14:15], v[13:14]
	v_dual_mov_b32 v26, v16 :: v_dual_mov_b32 v25, v15
	s_delay_alu instid0(VALU_DEP_2)
	s_and_saveexec_b32 s17, s7
	s_cbranch_execnz .LBB4_37
; %bb.23:                               ;   in Loop: Header=BB4_10 Depth=1
	s_or_b32 exec_lo, exec_lo, s17
	s_and_saveexec_b32 s17, s7
	s_cbranch_execnz .LBB4_38
.LBB4_24:                               ;   in Loop: Header=BB4_10 Depth=1
	s_or_b32 exec_lo, exec_lo, s17
	s_delay_alu instid0(SALU_CYCLE_1)
	s_and_not1_b32 vcc_lo, exec_lo, s24
	s_cbranch_vccnz .LBB4_26
.LBB4_25:                               ;   in Loop: Header=BB4_10 Depth=1
	s_load_b32 s17, s[8:9], 0x0
	s_waitcnt lgkmcnt(0)
	v_cvt_f64_f32_e32 v[27:28], s17
	s_waitcnt vmcnt(0)
	s_delay_alu instid0(VALU_DEP_1) | instskip(NEXT) | instid1(VALU_DEP_1)
	v_div_scale_f64 v[29:30], null, v[27:28], v[27:28], v[3:4]
	v_rcp_f64_e32 v[31:32], v[29:30]
	s_waitcnt_depctr 0xfff
	v_fma_f64 v[33:34], -v[29:30], v[31:32], 1.0
	s_delay_alu instid0(VALU_DEP_1) | instskip(NEXT) | instid1(VALU_DEP_1)
	v_fma_f64 v[31:32], v[31:32], v[33:34], v[31:32]
	v_fma_f64 v[33:34], -v[29:30], v[31:32], 1.0
	s_delay_alu instid0(VALU_DEP_1) | instskip(SKIP_1) | instid1(VALU_DEP_1)
	v_fma_f64 v[31:32], v[31:32], v[33:34], v[31:32]
	v_div_scale_f64 v[33:34], vcc_lo, v[3:4], v[27:28], v[3:4]
	v_mul_f64 v[35:36], v[33:34], v[31:32]
	s_delay_alu instid0(VALU_DEP_1) | instskip(NEXT) | instid1(VALU_DEP_1)
	v_fma_f64 v[29:30], -v[29:30], v[35:36], v[33:34]
	v_div_fmas_f64 v[29:30], v[29:30], v[31:32], v[35:36]
	s_delay_alu instid0(VALU_DEP_1)
	v_div_fixup_f64 v[3:4], v[29:30], v[27:28], v[3:4]
.LBB4_26:                               ;   in Loop: Header=BB4_10 Depth=1
	s_and_not1_b32 vcc_lo, exec_lo, s24
	s_cbranch_vccnz .LBB4_28
; %bb.27:                               ;   in Loop: Header=BB4_10 Depth=1
	s_load_b32 s17, s[8:9], 0x0
	s_waitcnt lgkmcnt(0)
	v_cvt_f64_f32_e32 v[27:28], s17
	s_waitcnt vmcnt(0)
	s_delay_alu instid0(VALU_DEP_1) | instskip(NEXT) | instid1(VALU_DEP_1)
	v_div_scale_f64 v[29:30], null, v[27:28], v[27:28], v[7:8]
	v_rcp_f64_e32 v[31:32], v[29:30]
	s_waitcnt_depctr 0xfff
	v_fma_f64 v[33:34], -v[29:30], v[31:32], 1.0
	s_delay_alu instid0(VALU_DEP_1) | instskip(NEXT) | instid1(VALU_DEP_1)
	v_fma_f64 v[31:32], v[31:32], v[33:34], v[31:32]
	v_fma_f64 v[33:34], -v[29:30], v[31:32], 1.0
	s_delay_alu instid0(VALU_DEP_1) | instskip(SKIP_1) | instid1(VALU_DEP_1)
	v_fma_f64 v[31:32], v[31:32], v[33:34], v[31:32]
	v_div_scale_f64 v[33:34], vcc_lo, v[7:8], v[27:28], v[7:8]
	v_mul_f64 v[35:36], v[33:34], v[31:32]
	s_delay_alu instid0(VALU_DEP_1) | instskip(NEXT) | instid1(VALU_DEP_1)
	v_fma_f64 v[29:30], -v[29:30], v[35:36], v[33:34]
	v_div_fmas_f64 v[29:30], v[29:30], v[31:32], v[35:36]
	s_delay_alu instid0(VALU_DEP_1)
	v_div_fixup_f64 v[7:8], v[29:30], v[27:28], v[7:8]
.LBB4_28:                               ;   in Loop: Header=BB4_10 Depth=1
	s_and_not1_b32 vcc_lo, exec_lo, s24
	s_cbranch_vccnz .LBB4_30
; %bb.29:                               ;   in Loop: Header=BB4_10 Depth=1
	s_load_b32 s17, s[8:9], 0x0
	s_waitcnt lgkmcnt(0)
	v_cvt_f64_f32_e32 v[27:28], s17
	s_waitcnt vmcnt(0)
	s_delay_alu instid0(VALU_DEP_1) | instskip(NEXT) | instid1(VALU_DEP_1)
	v_div_scale_f64 v[29:30], null, v[27:28], v[27:28], v[11:12]
	v_rcp_f64_e32 v[31:32], v[29:30]
	s_waitcnt_depctr 0xfff
	v_fma_f64 v[33:34], -v[29:30], v[31:32], 1.0
	s_delay_alu instid0(VALU_DEP_1) | instskip(NEXT) | instid1(VALU_DEP_1)
	v_fma_f64 v[31:32], v[31:32], v[33:34], v[31:32]
	v_fma_f64 v[33:34], -v[29:30], v[31:32], 1.0
	s_delay_alu instid0(VALU_DEP_1) | instskip(SKIP_1) | instid1(VALU_DEP_1)
	v_fma_f64 v[31:32], v[31:32], v[33:34], v[31:32]
	v_div_scale_f64 v[33:34], vcc_lo, v[11:12], v[27:28], v[11:12]
	v_mul_f64 v[35:36], v[33:34], v[31:32]
	s_delay_alu instid0(VALU_DEP_1) | instskip(NEXT) | instid1(VALU_DEP_1)
	v_fma_f64 v[29:30], -v[29:30], v[35:36], v[33:34]
	v_div_fmas_f64 v[29:30], v[29:30], v[31:32], v[35:36]
	s_delay_alu instid0(VALU_DEP_1)
	v_div_fixup_f64 v[11:12], v[29:30], v[27:28], v[11:12]
.LBB4_30:                               ;   in Loop: Header=BB4_10 Depth=1
	;; [unrolled: 25-line block ×3, first 2 shown]
	s_and_saveexec_b32 s17, s4
	s_cbranch_execnz .LBB4_39
; %bb.33:                               ;   in Loop: Header=BB4_10 Depth=1
	s_or_b32 exec_lo, exec_lo, s17
	s_and_saveexec_b32 s17, s5
	s_cbranch_execnz .LBB4_40
.LBB4_34:                               ;   in Loop: Header=BB4_10 Depth=1
	s_or_b32 exec_lo, exec_lo, s17
	s_and_saveexec_b32 s17, s6
	s_cbranch_execnz .LBB4_41
.LBB4_35:                               ;   in Loop: Header=BB4_10 Depth=1
	s_or_b32 exec_lo, exec_lo, s17
	s_and_saveexec_b32 s17, s7
	s_cbranch_execnz .LBB4_42
.LBB4_36:                               ;   in Loop: Header=BB4_10 Depth=1
	s_or_b32 exec_lo, exec_lo, s17
	s_delay_alu instid0(SALU_CYCLE_1)
	s_and_not1_b32 vcc_lo, exec_lo, s24
	s_cbranch_vccz .LBB4_43
	s_branch .LBB4_9
.LBB4_37:                               ;   in Loop: Header=BB4_10 Depth=1
	v_lshlrev_b64 v[25:26], 3, v[13:14]
	s_delay_alu instid0(VALU_DEP_1) | instskip(NEXT) | instid1(VALU_DEP_2)
	v_add_co_u32 v25, vcc_lo, s18, v25
	v_add_co_ci_u32_e32 v26, vcc_lo, s19, v26, vcc_lo
	global_load_b64 v[25:26], v[25:26], off
	s_or_b32 exec_lo, exec_lo, s17
	s_and_saveexec_b32 s17, s7
	s_cbranch_execz .LBB4_24
.LBB4_38:                               ;   in Loop: Header=BB4_10 Depth=1
	v_lshlrev_b64 v[15:16], 3, v[13:14]
	s_delay_alu instid0(VALU_DEP_1) | instskip(NEXT) | instid1(VALU_DEP_2)
	v_add_co_u32 v15, vcc_lo, s20, v15
	v_add_co_ci_u32_e32 v16, vcc_lo, s21, v16, vcc_lo
	global_load_b64 v[15:16], v[15:16], off
	s_or_b32 exec_lo, exec_lo, s17
	s_delay_alu instid0(SALU_CYCLE_1)
	s_and_not1_b32 vcc_lo, exec_lo, s24
	s_cbranch_vccz .LBB4_25
	s_branch .LBB4_26
.LBB4_39:                               ;   in Loop: Header=BB4_10 Depth=1
	s_waitcnt vmcnt(0)
	s_delay_alu instid0(VALU_DEP_1) | instskip(NEXT) | instid1(VALU_DEP_2)
	v_xor_b32_e32 v28, 0x80000000, v4
	v_cndmask_b32_e64 v27, v3, v3, s2
	s_delay_alu instid0(VALU_DEP_2) | instskip(NEXT) | instid1(VALU_DEP_1)
	v_cndmask_b32_e64 v28, v4, v28, s2
	v_fma_f64 v[29:30], v[17:18], s[10:11], v[27:28]
	s_delay_alu instid0(VALU_DEP_1) | instskip(NEXT) | instid1(VALU_DEP_2)
	v_cndmask_b32_e64 v28, v28, v30, s3
	v_cndmask_b32_e64 v27, v27, v29, s3
	s_delay_alu instid0(VALU_DEP_1) | instskip(SKIP_1) | instid1(VALU_DEP_1)
	v_fma_f64 v[17:18], -v[21:22], v[27:28], v[17:18]
	v_lshlrev_b64 v[27:28], 3, v[1:2]
	v_add_co_u32 v27, vcc_lo, s18, v27
	s_delay_alu instid0(VALU_DEP_2)
	v_add_co_ci_u32_e32 v28, vcc_lo, s19, v28, vcc_lo
	global_store_b64 v[27:28], v[17:18], off
	s_or_b32 exec_lo, exec_lo, s17
	s_and_saveexec_b32 s17, s5
	s_cbranch_execz .LBB4_34
.LBB4_40:                               ;   in Loop: Header=BB4_10 Depth=1
	s_waitcnt vmcnt(0)
	s_delay_alu instid0(VALU_DEP_1) | instskip(NEXT) | instid1(VALU_DEP_2)
	v_xor_b32_e32 v18, 0x80000000, v8
	v_cndmask_b32_e64 v17, v7, v7, s2
	s_delay_alu instid0(VALU_DEP_2) | instskip(NEXT) | instid1(VALU_DEP_1)
	v_cndmask_b32_e64 v18, v8, v18, s2
	v_fma_f64 v[27:28], v[19:20], s[10:11], v[17:18]
	s_delay_alu instid0(VALU_DEP_1) | instskip(NEXT) | instid1(VALU_DEP_2)
	v_cndmask_b32_e64 v18, v18, v28, s3
	v_cndmask_b32_e64 v17, v17, v27, s3
	s_delay_alu instid0(VALU_DEP_1) | instskip(SKIP_1) | instid1(VALU_DEP_1)
	v_fma_f64 v[17:18], -v[21:22], v[17:18], v[19:20]
	v_lshlrev_b64 v[19:20], 3, v[5:6]
	v_add_co_u32 v19, vcc_lo, s18, v19
	s_delay_alu instid0(VALU_DEP_2)
	v_add_co_ci_u32_e32 v20, vcc_lo, s19, v20, vcc_lo
	global_store_b64 v[19:20], v[17:18], off
	s_or_b32 exec_lo, exec_lo, s17
	s_and_saveexec_b32 s17, s6
	s_cbranch_execz .LBB4_35
.LBB4_41:                               ;   in Loop: Header=BB4_10 Depth=1
	s_waitcnt vmcnt(0)
	s_delay_alu instid0(VALU_DEP_1) | instskip(NEXT) | instid1(VALU_DEP_2)
	v_xor_b32_e32 v18, 0x80000000, v12
	v_cndmask_b32_e64 v17, v11, v11, s2
	s_delay_alu instid0(VALU_DEP_2) | instskip(NEXT) | instid1(VALU_DEP_1)
	v_cndmask_b32_e64 v18, v12, v18, s2
	v_fma_f64 v[19:20], v[23:24], s[10:11], v[17:18]
	s_delay_alu instid0(VALU_DEP_1) | instskip(NEXT) | instid1(VALU_DEP_2)
	v_cndmask_b32_e64 v18, v18, v20, s3
	v_cndmask_b32_e64 v17, v17, v19, s3
	v_lshlrev_b64 v[19:20], 3, v[9:10]
	s_delay_alu instid0(VALU_DEP_2) | instskip(NEXT) | instid1(VALU_DEP_2)
	v_fma_f64 v[17:18], -v[21:22], v[17:18], v[23:24]
	v_add_co_u32 v19, vcc_lo, s18, v19
	s_delay_alu instid0(VALU_DEP_3)
	v_add_co_ci_u32_e32 v20, vcc_lo, s19, v20, vcc_lo
	global_store_b64 v[19:20], v[17:18], off
	s_or_b32 exec_lo, exec_lo, s17
	s_and_saveexec_b32 s17, s7
	s_cbranch_execz .LBB4_36
.LBB4_42:                               ;   in Loop: Header=BB4_10 Depth=1
	s_waitcnt vmcnt(0)
	s_delay_alu instid0(VALU_DEP_1) | instskip(NEXT) | instid1(VALU_DEP_2)
	v_xor_b32_e32 v18, 0x80000000, v16
	v_cndmask_b32_e64 v17, v15, v15, s2
	s_delay_alu instid0(VALU_DEP_2) | instskip(NEXT) | instid1(VALU_DEP_1)
	v_cndmask_b32_e64 v18, v16, v18, s2
	v_fma_f64 v[19:20], v[25:26], s[10:11], v[17:18]
	s_delay_alu instid0(VALU_DEP_1) | instskip(NEXT) | instid1(VALU_DEP_2)
	v_cndmask_b32_e64 v18, v18, v20, s3
	v_cndmask_b32_e64 v17, v17, v19, s3
	v_lshlrev_b64 v[19:20], 3, v[13:14]
	s_delay_alu instid0(VALU_DEP_2) | instskip(NEXT) | instid1(VALU_DEP_2)
	v_fma_f64 v[17:18], -v[21:22], v[17:18], v[25:26]
	v_add_co_u32 v19, vcc_lo, s18, v19
	s_delay_alu instid0(VALU_DEP_3) | instskip(SKIP_2) | instid1(SALU_CYCLE_1)
	v_add_co_ci_u32_e32 v20, vcc_lo, s19, v20, vcc_lo
	global_store_b64 v[19:20], v[17:18], off
	s_or_b32 exec_lo, exec_lo, s17
	s_and_not1_b32 vcc_lo, exec_lo, s24
	s_cbranch_vccnz .LBB4_9
.LBB4_43:                               ;   in Loop: Header=BB4_10 Depth=1
	s_and_saveexec_b32 s17, s4
	s_cbranch_execnz .LBB4_47
; %bb.44:                               ;   in Loop: Header=BB4_10 Depth=1
	s_or_b32 exec_lo, exec_lo, s17
	s_and_saveexec_b32 s4, s5
	s_cbranch_execnz .LBB4_48
.LBB4_45:                               ;   in Loop: Header=BB4_10 Depth=1
	s_or_b32 exec_lo, exec_lo, s4
	s_and_saveexec_b32 s4, s6
	s_cbranch_execnz .LBB4_49
.LBB4_46:                               ;   in Loop: Header=BB4_10 Depth=1
	s_or_b32 exec_lo, exec_lo, s4
	s_and_saveexec_b32 s4, s7
	s_cbranch_execz .LBB4_8
	s_branch .LBB4_50
.LBB4_47:                               ;   in Loop: Header=BB4_10 Depth=1
	v_lshlrev_b64 v[1:2], 3, v[1:2]
	s_delay_alu instid0(VALU_DEP_1) | instskip(NEXT) | instid1(VALU_DEP_2)
	v_add_co_u32 v1, vcc_lo, s20, v1
	v_add_co_ci_u32_e32 v2, vcc_lo, s21, v2, vcc_lo
	s_waitcnt vmcnt(0)
	global_store_b64 v[1:2], v[3:4], off
	s_or_b32 exec_lo, exec_lo, s17
	s_and_saveexec_b32 s4, s5
	s_cbranch_execz .LBB4_45
.LBB4_48:                               ;   in Loop: Header=BB4_10 Depth=1
	v_lshlrev_b64 v[1:2], 3, v[5:6]
	s_delay_alu instid0(VALU_DEP_1) | instskip(NEXT) | instid1(VALU_DEP_2)
	v_add_co_u32 v1, vcc_lo, s20, v1
	v_add_co_ci_u32_e32 v2, vcc_lo, s21, v2, vcc_lo
	s_waitcnt vmcnt(0)
	global_store_b64 v[1:2], v[7:8], off
	s_or_b32 exec_lo, exec_lo, s4
	s_and_saveexec_b32 s4, s6
	s_cbranch_execz .LBB4_46
.LBB4_49:                               ;   in Loop: Header=BB4_10 Depth=1
	v_lshlrev_b64 v[1:2], 3, v[9:10]
	s_delay_alu instid0(VALU_DEP_1) | instskip(NEXT) | instid1(VALU_DEP_2)
	v_add_co_u32 v1, vcc_lo, s20, v1
	v_add_co_ci_u32_e32 v2, vcc_lo, s21, v2, vcc_lo
	s_waitcnt vmcnt(0)
	global_store_b64 v[1:2], v[11:12], off
	s_or_b32 exec_lo, exec_lo, s4
	s_and_saveexec_b32 s4, s7
	s_cbranch_execz .LBB4_8
.LBB4_50:                               ;   in Loop: Header=BB4_10 Depth=1
	v_lshlrev_b64 v[1:2], 3, v[13:14]
	s_delay_alu instid0(VALU_DEP_1) | instskip(NEXT) | instid1(VALU_DEP_2)
	v_add_co_u32 v1, vcc_lo, s20, v1
	v_add_co_ci_u32_e32 v2, vcc_lo, s21, v2, vcc_lo
	s_waitcnt vmcnt(0)
	global_store_b64 v[1:2], v[15:16], off
	s_branch .LBB4_8
.LBB4_51:
	s_mov_b32 s3, 0
.LBB4_52:
	s_delay_alu instid0(SALU_CYCLE_1)
	s_and_not1_b32 vcc_lo, exec_lo, s3
	s_cbranch_vccnz .LBB4_66
; %bb.53:
	s_waitcnt vmcnt(0)
	v_dual_mov_b32 v24, 0 :: v_dual_lshlrev_b32 v23, 2, v0
	s_mov_b32 s4, 0
	s_mov_b32 s3, exec_lo
	s_delay_alu instid0(VALU_DEP_1)
	v_cmpx_gt_i64_e64 s[12:13], v[23:24]
	s_cbranch_execz .LBB4_66
; %bb.54:
	v_cmp_neq_f64_e64 s3, s[10:11], 0
	s_load_b32 s0, s[0:1], 0xc9c
	v_mov_b32_e32 v1, v24
	s_cmp_lg_u64 s[8:9], 0
	s_cselect_b32 s1, -1, 0
	s_waitcnt lgkmcnt(0)
	s_and_b32 s5, s0, 0xffff
	s_branch .LBB4_56
.LBB4_55:                               ;   in Loop: Header=BB4_56 Depth=1
	v_add_nc_u32_e32 v23, s5, v0
	s_delay_alu instid0(VALU_DEP_1) | instskip(SKIP_1) | instid1(VALU_DEP_2)
	v_lshlrev_b64 v[0:1], 2, v[23:24]
	v_cmp_lt_u32_e64 s0, 0x3fff, v23
	v_cmp_le_u64_e32 vcc_lo, s[12:13], v[0:1]
	v_dual_mov_b32 v0, v23 :: v_dual_mov_b32 v1, v24
	s_delay_alu instid0(VALU_DEP_3) | instskip(NEXT) | instid1(SALU_CYCLE_1)
	s_or_b32 s0, s0, vcc_lo
	s_and_b32 s0, exec_lo, s0
	s_delay_alu instid0(SALU_CYCLE_1) | instskip(NEXT) | instid1(SALU_CYCLE_1)
	s_or_b32 s4, s0, s4
	s_and_not1_b32 exec_lo, exec_lo, s4
	s_cbranch_execz .LBB4_66
.LBB4_56:                               ; =>This Inner Loop Header: Depth=1
	v_lshlrev_b64 v[1:2], 5, v[0:1]
	s_delay_alu instid0(VALU_DEP_1) | instskip(NEXT) | instid1(VALU_DEP_2)
	v_add_co_u32 v25, vcc_lo, s18, v1
	v_add_co_ci_u32_e32 v26, vcc_lo, s19, v2, vcc_lo
	v_add_co_u32 v27, vcc_lo, s20, v1
	v_add_co_ci_u32_e32 v28, vcc_lo, s21, v2, vcc_lo
	s_clause 0x1
	global_load_b128 v[1:4], v[25:26], off offset:16
	global_load_b128 v[13:16], v[25:26], off
	s_clause 0x1
	global_load_b128 v[5:8], v[27:28], off offset:16
	global_load_b128 v[9:12], v[27:28], off
	s_and_not1_b32 vcc_lo, exec_lo, s1
	s_cbranch_vccnz .LBB4_58
; %bb.57:                               ;   in Loop: Header=BB4_56 Depth=1
	global_load_b32 v17, v24, s[8:9]
	s_waitcnt vmcnt(0)
	v_cvt_f64_f32_e32 v[17:18], v17
	s_delay_alu instid0(VALU_DEP_1) | instskip(NEXT) | instid1(VALU_DEP_1)
	v_div_scale_f64 v[19:20], null, v[17:18], v[17:18], v[9:10]
	v_rcp_f64_e32 v[29:30], v[19:20]
	s_waitcnt_depctr 0xfff
	v_fma_f64 v[31:32], -v[19:20], v[29:30], 1.0
	s_delay_alu instid0(VALU_DEP_1) | instskip(NEXT) | instid1(VALU_DEP_1)
	v_fma_f64 v[29:30], v[29:30], v[31:32], v[29:30]
	v_fma_f64 v[31:32], -v[19:20], v[29:30], 1.0
	s_delay_alu instid0(VALU_DEP_1) | instskip(SKIP_1) | instid1(VALU_DEP_1)
	v_fma_f64 v[29:30], v[29:30], v[31:32], v[29:30]
	v_div_scale_f64 v[31:32], vcc_lo, v[9:10], v[17:18], v[9:10]
	v_mul_f64 v[33:34], v[31:32], v[29:30]
	s_delay_alu instid0(VALU_DEP_1) | instskip(NEXT) | instid1(VALU_DEP_1)
	v_fma_f64 v[19:20], -v[19:20], v[33:34], v[31:32]
	v_div_fmas_f64 v[19:20], v[19:20], v[29:30], v[33:34]
	s_delay_alu instid0(VALU_DEP_1)
	v_div_fixup_f64 v[9:10], v[19:20], v[17:18], v[9:10]
.LBB4_58:                               ;   in Loop: Header=BB4_56 Depth=1
	s_and_not1_b32 vcc_lo, exec_lo, s1
	s_cbranch_vccnz .LBB4_60
; %bb.59:                               ;   in Loop: Header=BB4_56 Depth=1
	global_load_b32 v17, v24, s[8:9]
	s_waitcnt vmcnt(0)
	v_cvt_f64_f32_e32 v[17:18], v17
	s_delay_alu instid0(VALU_DEP_1) | instskip(NEXT) | instid1(VALU_DEP_1)
	v_div_scale_f64 v[19:20], null, v[17:18], v[17:18], v[11:12]
	v_rcp_f64_e32 v[29:30], v[19:20]
	s_waitcnt_depctr 0xfff
	v_fma_f64 v[31:32], -v[19:20], v[29:30], 1.0
	s_delay_alu instid0(VALU_DEP_1) | instskip(NEXT) | instid1(VALU_DEP_1)
	v_fma_f64 v[29:30], v[29:30], v[31:32], v[29:30]
	v_fma_f64 v[31:32], -v[19:20], v[29:30], 1.0
	s_delay_alu instid0(VALU_DEP_1) | instskip(SKIP_1) | instid1(VALU_DEP_1)
	v_fma_f64 v[29:30], v[29:30], v[31:32], v[29:30]
	v_div_scale_f64 v[31:32], vcc_lo, v[11:12], v[17:18], v[11:12]
	v_mul_f64 v[33:34], v[31:32], v[29:30]
	s_delay_alu instid0(VALU_DEP_1) | instskip(NEXT) | instid1(VALU_DEP_1)
	v_fma_f64 v[19:20], -v[19:20], v[33:34], v[31:32]
	v_div_fmas_f64 v[19:20], v[19:20], v[29:30], v[33:34]
	s_delay_alu instid0(VALU_DEP_1)
	v_div_fixup_f64 v[11:12], v[19:20], v[17:18], v[11:12]
.LBB4_60:                               ;   in Loop: Header=BB4_56 Depth=1
	;; [unrolled: 24-line block ×3, first 2 shown]
	s_waitcnt vmcnt(0)
	s_delay_alu instid0(VALU_DEP_1) | instskip(NEXT) | instid1(VALU_DEP_2)
	v_xor_b32_e32 v18, 0x80000000, v12
	v_xor_b32_e32 v20, 0x80000000, v10
	s_delay_alu instid0(VALU_DEP_3) | instskip(NEXT) | instid1(VALU_DEP_4)
	v_xor_b32_e32 v23, 0x80000000, v6
	v_cndmask_b32_e64 v17, v11, v11, s2
	v_cndmask_b32_e64 v19, v9, v9, s2
	;; [unrolled: 1-line block ×6, first 2 shown]
	s_and_not1_b32 vcc_lo, exec_lo, s1
	v_fma_f64 v[31:32], v[15:16], s[10:11], v[17:18]
	v_fma_f64 v[33:34], v[13:14], s[10:11], v[19:20]
	s_delay_alu instid0(VALU_DEP_3) | instskip(NEXT) | instid1(VALU_DEP_3)
	v_fma_f64 v[35:36], v[1:2], s[10:11], v[29:30]
	v_cndmask_b32_e64 v18, v18, v32, s3
	s_delay_alu instid0(VALU_DEP_4) | instskip(NEXT) | instid1(VALU_DEP_4)
	v_cndmask_b32_e64 v17, v17, v31, s3
	v_cndmask_b32_e64 v32, v20, v34, s3
	;; [unrolled: 1-line block ×5, first 2 shown]
	v_fma_f64 v[19:20], -v[21:22], v[17:18], v[15:16]
	s_delay_alu instid0(VALU_DEP_4) | instskip(NEXT) | instid1(VALU_DEP_3)
	v_fma_f64 v[17:18], -v[21:22], v[31:32], v[13:14]
	v_fma_f64 v[13:14], -v[21:22], v[29:30], v[1:2]
	s_cbranch_vccnz .LBB4_64
; %bb.63:                               ;   in Loop: Header=BB4_56 Depth=1
	global_load_b32 v1, v24, s[8:9]
	s_waitcnt vmcnt(0)
	v_cvt_f64_f32_e32 v[1:2], v1
	s_delay_alu instid0(VALU_DEP_1) | instskip(SKIP_1) | instid1(VALU_DEP_2)
	v_div_scale_f64 v[15:16], null, v[1:2], v[1:2], v[7:8]
	v_div_scale_f64 v[33:34], vcc_lo, v[7:8], v[1:2], v[7:8]
	v_rcp_f64_e32 v[29:30], v[15:16]
	s_waitcnt_depctr 0xfff
	v_fma_f64 v[31:32], -v[15:16], v[29:30], 1.0
	s_delay_alu instid0(VALU_DEP_1) | instskip(NEXT) | instid1(VALU_DEP_1)
	v_fma_f64 v[29:30], v[29:30], v[31:32], v[29:30]
	v_fma_f64 v[31:32], -v[15:16], v[29:30], 1.0
	s_delay_alu instid0(VALU_DEP_1) | instskip(NEXT) | instid1(VALU_DEP_1)
	v_fma_f64 v[29:30], v[29:30], v[31:32], v[29:30]
	v_mul_f64 v[31:32], v[33:34], v[29:30]
	s_delay_alu instid0(VALU_DEP_1) | instskip(NEXT) | instid1(VALU_DEP_1)
	v_fma_f64 v[15:16], -v[15:16], v[31:32], v[33:34]
	v_div_fmas_f64 v[15:16], v[15:16], v[29:30], v[31:32]
	v_dual_mov_b32 v29, v5 :: v_dual_mov_b32 v30, v6
	s_delay_alu instid0(VALU_DEP_2) | instskip(NEXT) | instid1(VALU_DEP_1)
	v_div_fixup_f64 v[31:32], v[15:16], v[1:2], v[7:8]
	v_xor_b32_e32 v2, 0x80000000, v32
	s_delay_alu instid0(VALU_DEP_2) | instskip(NEXT) | instid1(VALU_DEP_2)
	v_cndmask_b32_e64 v1, v31, v31, s2
	v_cndmask_b32_e64 v2, v32, v2, s2
	s_delay_alu instid0(VALU_DEP_1) | instskip(NEXT) | instid1(VALU_DEP_1)
	v_fma_f64 v[15:16], v[3:4], s[10:11], v[1:2]
	v_cndmask_b32_e64 v2, v2, v16, s3
	s_delay_alu instid0(VALU_DEP_2) | instskip(NEXT) | instid1(VALU_DEP_1)
	v_cndmask_b32_e64 v1, v1, v15, s3
	v_fma_f64 v[15:16], -v[21:22], v[1:2], v[3:4]
	s_clause 0x1
	global_store_b128 v[25:26], v[17:20], off
	global_store_b128 v[25:26], v[13:16], off offset:16
	s_clause 0x1
	global_store_b128 v[27:28], v[9:12], off
	global_store_b128 v[27:28], v[29:32], off offset:16
	s_cbranch_execnz .LBB4_55
	s_branch .LBB4_65
.LBB4_64:                               ;   in Loop: Header=BB4_56 Depth=1
.LBB4_65:                               ;   in Loop: Header=BB4_56 Depth=1
	v_xor_b32_e32 v2, 0x80000000, v8
	v_cndmask_b32_e64 v1, v7, v7, s2
	s_delay_alu instid0(VALU_DEP_2) | instskip(NEXT) | instid1(VALU_DEP_1)
	v_cndmask_b32_e64 v2, v8, v2, s2
	v_fma_f64 v[5:6], v[3:4], s[10:11], v[1:2]
	s_delay_alu instid0(VALU_DEP_1) | instskip(NEXT) | instid1(VALU_DEP_2)
	v_cndmask_b32_e64 v2, v2, v6, s3
	v_cndmask_b32_e64 v1, v1, v5, s3
	s_delay_alu instid0(VALU_DEP_1)
	v_fma_f64 v[15:16], -v[21:22], v[1:2], v[3:4]
	s_clause 0x1
	global_store_b128 v[25:26], v[17:20], off
	global_store_b128 v[25:26], v[13:16], off offset:16
	s_branch .LBB4_55
.LBB4_66:
	s_nop 0
	s_sendmsg sendmsg(MSG_DEALLOC_VGPRS)
	s_endpgm
	.section	.rodata,"a",@progbits
	.p2align	6, 0x0
	.amdhsa_kernel _ZN2at6native12_GLOBAL__N_125multi_tensor_apply_kernelINS1_18TensorListMetadataILi2EEENS1_19FusedSgdMathFunctorIdLi2EEEJddPfddbbbS7_S7_EEEvT_T0_DpT1_
		.amdhsa_group_segment_fixed_size 0
		.amdhsa_private_segment_fixed_size 0
		.amdhsa_kernarg_size 3472
		.amdhsa_user_sgpr_count 15
		.amdhsa_user_sgpr_dispatch_ptr 0
		.amdhsa_user_sgpr_queue_ptr 0
		.amdhsa_user_sgpr_kernarg_segment_ptr 1
		.amdhsa_user_sgpr_dispatch_id 0
		.amdhsa_user_sgpr_private_segment_size 0
		.amdhsa_wavefront_size32 1
		.amdhsa_uses_dynamic_stack 0
		.amdhsa_enable_private_segment 0
		.amdhsa_system_sgpr_workgroup_id_x 1
		.amdhsa_system_sgpr_workgroup_id_y 0
		.amdhsa_system_sgpr_workgroup_id_z 0
		.amdhsa_system_sgpr_workgroup_info 0
		.amdhsa_system_vgpr_workitem_id 0
		.amdhsa_next_free_vgpr 37
		.amdhsa_next_free_sgpr 27
		.amdhsa_reserve_vcc 1
		.amdhsa_float_round_mode_32 0
		.amdhsa_float_round_mode_16_64 0
		.amdhsa_float_denorm_mode_32 3
		.amdhsa_float_denorm_mode_16_64 3
		.amdhsa_dx10_clamp 1
		.amdhsa_ieee_mode 1
		.amdhsa_fp16_overflow 0
		.amdhsa_workgroup_processor_mode 1
		.amdhsa_memory_ordered 1
		.amdhsa_forward_progress 0
		.amdhsa_shared_vgpr_count 0
		.amdhsa_exception_fp_ieee_invalid_op 0
		.amdhsa_exception_fp_denorm_src 0
		.amdhsa_exception_fp_ieee_div_zero 0
		.amdhsa_exception_fp_ieee_overflow 0
		.amdhsa_exception_fp_ieee_underflow 0
		.amdhsa_exception_fp_ieee_inexact 0
		.amdhsa_exception_int_div_zero 0
	.end_amdhsa_kernel
	.section	.text._ZN2at6native12_GLOBAL__N_125multi_tensor_apply_kernelINS1_18TensorListMetadataILi2EEENS1_19FusedSgdMathFunctorIdLi2EEEJddPfddbbbS7_S7_EEEvT_T0_DpT1_,"axG",@progbits,_ZN2at6native12_GLOBAL__N_125multi_tensor_apply_kernelINS1_18TensorListMetadataILi2EEENS1_19FusedSgdMathFunctorIdLi2EEEJddPfddbbbS7_S7_EEEvT_T0_DpT1_,comdat
.Lfunc_end4:
	.size	_ZN2at6native12_GLOBAL__N_125multi_tensor_apply_kernelINS1_18TensorListMetadataILi2EEENS1_19FusedSgdMathFunctorIdLi2EEEJddPfddbbbS7_S7_EEEvT_T0_DpT1_, .Lfunc_end4-_ZN2at6native12_GLOBAL__N_125multi_tensor_apply_kernelINS1_18TensorListMetadataILi2EEENS1_19FusedSgdMathFunctorIdLi2EEEJddPfddbbbS7_S7_EEEvT_T0_DpT1_
                                        ; -- End function
	.section	.AMDGPU.csdata,"",@progbits
; Kernel info:
; codeLenInByte = 3548
; NumSgprs: 29
; NumVgprs: 37
; ScratchSize: 0
; MemoryBound: 1
; FloatMode: 240
; IeeeMode: 1
; LDSByteSize: 0 bytes/workgroup (compile time only)
; SGPRBlocks: 3
; VGPRBlocks: 4
; NumSGPRsForWavesPerEU: 29
; NumVGPRsForWavesPerEU: 37
; Occupancy: 16
; WaveLimiterHint : 0
; COMPUTE_PGM_RSRC2:SCRATCH_EN: 0
; COMPUTE_PGM_RSRC2:USER_SGPR: 15
; COMPUTE_PGM_RSRC2:TRAP_HANDLER: 0
; COMPUTE_PGM_RSRC2:TGID_X_EN: 1
; COMPUTE_PGM_RSRC2:TGID_Y_EN: 0
; COMPUTE_PGM_RSRC2:TGID_Z_EN: 0
; COMPUTE_PGM_RSRC2:TIDIG_COMP_CNT: 0
	.section	.text._ZN2at6native12_GLOBAL__N_125multi_tensor_apply_kernelINS1_18TensorListMetadataILi2EEENS1_19FusedSgdMathFunctorIfLi2EEEJddPfddbbbS7_S7_EEEvT_T0_DpT1_,"axG",@progbits,_ZN2at6native12_GLOBAL__N_125multi_tensor_apply_kernelINS1_18TensorListMetadataILi2EEENS1_19FusedSgdMathFunctorIfLi2EEEJddPfddbbbS7_S7_EEEvT_T0_DpT1_,comdat
	.globl	_ZN2at6native12_GLOBAL__N_125multi_tensor_apply_kernelINS1_18TensorListMetadataILi2EEENS1_19FusedSgdMathFunctorIfLi2EEEJddPfddbbbS7_S7_EEEvT_T0_DpT1_ ; -- Begin function _ZN2at6native12_GLOBAL__N_125multi_tensor_apply_kernelINS1_18TensorListMetadataILi2EEENS1_19FusedSgdMathFunctorIfLi2EEEJddPfddbbbS7_S7_EEEvT_T0_DpT1_
	.p2align	8
	.type	_ZN2at6native12_GLOBAL__N_125multi_tensor_apply_kernelINS1_18TensorListMetadataILi2EEENS1_19FusedSgdMathFunctorIfLi2EEEJddPfddbbbS7_S7_EEEvT_T0_DpT1_,@function
_ZN2at6native12_GLOBAL__N_125multi_tensor_apply_kernelINS1_18TensorListMetadataILi2EEENS1_19FusedSgdMathFunctorIfLi2EEEJddPfddbbbS7_S7_EEEvT_T0_DpT1_: ; @_ZN2at6native12_GLOBAL__N_125multi_tensor_apply_kernelINS1_18TensorListMetadataILi2EEENS1_19FusedSgdMathFunctorIfLi2EEEJddPfddbbbS7_S7_EEEvT_T0_DpT1_
; %bb.0:
	s_load_b128 s[8:11], s[0:1], 0xc80
	s_waitcnt lgkmcnt(0)
	s_cmp_eq_u64 s[10:11], 0
	s_cselect_b32 s2, -1, 0
	s_delay_alu instid0(SALU_CYCLE_1)
	s_and_b32 vcc_lo, exec_lo, s2
	s_cbranch_vccnz .LBB5_2
; %bb.1:
	s_load_b32 s2, s[10:11], 0x0
	s_waitcnt lgkmcnt(0)
	v_cmp_neq_f32_e64 s2, s2, 1.0
.LBB5_2:
	s_delay_alu instid0(VALU_DEP_1)
	s_and_not1_b32 vcc_lo, exec_lo, s2
	s_cbranch_vccnz .LBB5_67
; %bb.3:
	v_mov_b32_e32 v1, s15
	s_add_u32 s2, s0, s15
	s_mul_hi_u32 s3, s15, 3
	s_mul_i32 s15, s15, 3
	s_addc_u32 s11, s1, 0
	global_load_u8 v1, v1, s[0:1] offset:1536
	s_load_b128 s[4:7], s[0:1], 0xc60
	s_add_u32 s2, s2, s15
	s_addc_u32 s3, s11, s3
	s_mov_b32 s11, 0
	s_waitcnt lgkmcnt(0)
	s_cmp_eq_u64 s[4:5], 0
	s_waitcnt vmcnt(0)
	v_readfirstlane_b32 s10, v1
	s_cbranch_scc1 .LBB5_68
; %bb.4:
	s_load_b32 s4, s[4:5], 0x0
	s_load_b32 s2, s[2:3], 0x740
	s_waitcnt lgkmcnt(0)
	v_mov_b32_e32 v18, s4
	s_and_not1_b32 vcc_lo, exec_lo, s11
	s_cbranch_vccnz .LBB5_6
.LBB5_5:
	v_cvt_f32_f64_e32 v18, s[6:7]
.LBB5_6:
	s_clause 0x1
	s_load_b32 s3, s[0:1], 0xc78
	s_load_b64 s[4:5], s[0:1], 0xc50
	s_mov_b32 s21, 0
	s_delay_alu instid0(SALU_CYCLE_1)
	s_mov_b32 s23, s21
	s_waitcnt lgkmcnt(0)
	s_bitcmp1_b32 s3, 8
	v_cvt_f32_f64_e32 v19, s[4:5]
	s_cselect_b32 s7, -1, 0
	s_and_b32 s3, s10, 0xff
	s_delay_alu instid0(SALU_CYCLE_1)
	s_lshl_b32 s3, s3, 3
	s_clause 0x2
	s_load_b64 s[12:13], s[0:1], s3 offset:0x400
	s_load_b64 s[4:5], s[0:1], s3 offset:0x0
	s_load_b64 s[14:15], s[0:1], s3 offset:0x200
	s_ashr_i32 s3, s2, 31
	s_delay_alu instid0(SALU_CYCLE_1) | instskip(SKIP_4) | instid1(SALU_CYCLE_1)
	s_lshl_b64 s[10:11], s[2:3], 16
	s_waitcnt lgkmcnt(0)
	s_sub_u32 s10, s12, s10
	s_subb_u32 s11, s13, s11
	s_lshl_b64 s[2:3], s[2:3], 18
	s_add_u32 s16, s4, s2
	s_addc_u32 s17, s5, s3
	s_and_b32 s20, s16, 15
	s_add_u32 s18, s14, s2
	s_addc_u32 s19, s15, s3
	s_and_b32 s22, s18, 15
	s_and_b32 s2, s12, 3
	s_mov_b32 s3, s21
	s_delay_alu instid0(SALU_CYCLE_1) | instskip(NEXT) | instid1(SALU_CYCLE_1)
	s_or_b64 s[2:3], s[2:3], s[22:23]
	s_or_b64 s[2:3], s[2:3], s[20:21]
	s_delay_alu instid0(SALU_CYCLE_1)
	s_cmp_eq_u64 s[2:3], 0
	s_mov_b32 s2, -1
	s_cbranch_scc1 .LBB5_53
; %bb.7:
	v_cmp_lt_i64_e64 s2, s[10:11], 1
	s_delay_alu instid0(VALU_DEP_1)
	s_and_b32 vcc_lo, exec_lo, s2
	s_cbranch_vccnz .LBB5_52
; %bb.8:
	s_load_b32 s2, s[0:1], 0xc9c
	v_cmp_gt_i64_e64 s3, 0x10000, s[10:11]
	v_mov_b32_e32 v9, 0
	s_mov_b64 s[14:15], 0
	s_delay_alu instid0(VALU_DEP_2)
	s_and_b32 s3, s3, exec_lo
	s_cselect_b32 s13, s11, 0
	s_cselect_b32 s12, s10, 0x10000
	s_waitcnt lgkmcnt(0)
	s_and_b32 s20, s2, 0xffff
	v_cmp_neq_f32_e64 s2, 0, v19
	s_lshl_b32 s21, s20, 1
	s_cmp_lg_u64 s[8:9], 0
	s_mul_i32 s23, s20, 3
	s_cselect_b32 s22, -1, 0
	s_lshl_b32 s24, s20, 2
	s_branch .LBB5_11
.LBB5_9:                                ;   in Loop: Header=BB5_11 Depth=1
	s_or_b32 exec_lo, exec_lo, s3
.LBB5_10:                               ;   in Loop: Header=BB5_11 Depth=1
	s_add_i32 s14, s14, s24
	s_delay_alu instid0(SALU_CYCLE_1) | instskip(NEXT) | instid1(SALU_CYCLE_1)
	s_ashr_i32 s15, s14, 31
	v_cmp_lt_i64_e64 s3, s[14:15], s[12:13]
	s_delay_alu instid0(VALU_DEP_1)
	s_and_b32 vcc_lo, exec_lo, s3
	s_cbranch_vccz .LBB5_52
.LBB5_11:                               ; =>This Inner Loop Header: Depth=1
	v_add_co_u32 v1, s3, s14, v0
	s_delay_alu instid0(VALU_DEP_1) | instskip(SKIP_2) | instid1(VALU_DEP_2)
	v_add_co_ci_u32_e64 v2, null, s15, 0, s3
	s_waitcnt vmcnt(0)
	v_mov_b32_e32 v14, 0
	v_cmp_gt_i64_e64 s3, s[12:13], v[1:2]
	s_delay_alu instid0(VALU_DEP_1)
	s_and_saveexec_b32 s4, s3
	s_cbranch_execz .LBB5_13
; %bb.12:                               ;   in Loop: Header=BB5_11 Depth=1
	v_lshlrev_b64 v[3:4], 2, v[1:2]
	s_delay_alu instid0(VALU_DEP_1) | instskip(NEXT) | instid1(VALU_DEP_2)
	v_add_co_u32 v3, vcc_lo, s16, v3
	v_add_co_ci_u32_e32 v4, vcc_lo, s17, v4, vcc_lo
	global_load_b32 v14, v[3:4], off
.LBB5_13:                               ;   in Loop: Header=BB5_11 Depth=1
	s_or_b32 exec_lo, exec_lo, s4
	v_dual_mov_b32 v13, 0 :: v_dual_mov_b32 v10, 0
	s_and_saveexec_b32 s4, s3
	s_cbranch_execz .LBB5_15
; %bb.14:                               ;   in Loop: Header=BB5_11 Depth=1
	v_lshlrev_b64 v[3:4], 2, v[1:2]
	s_delay_alu instid0(VALU_DEP_1) | instskip(NEXT) | instid1(VALU_DEP_2)
	v_add_co_u32 v3, vcc_lo, s18, v3
	v_add_co_ci_u32_e32 v4, vcc_lo, s19, v4, vcc_lo
	global_load_b32 v10, v[3:4], off
.LBB5_15:                               ;   in Loop: Header=BB5_11 Depth=1
	s_or_b32 exec_lo, exec_lo, s4
	v_add_co_u32 v3, vcc_lo, v1, s20
	v_add_co_ci_u32_e32 v4, vcc_lo, 0, v2, vcc_lo
	s_delay_alu instid0(VALU_DEP_1) | instskip(NEXT) | instid1(VALU_DEP_1)
	v_cmp_gt_i64_e64 s4, s[12:13], v[3:4]
	s_and_saveexec_b32 s5, s4
	s_cbranch_execz .LBB5_17
; %bb.16:                               ;   in Loop: Header=BB5_11 Depth=1
	v_lshlrev_b64 v[5:6], 2, v[3:4]
	s_delay_alu instid0(VALU_DEP_1) | instskip(NEXT) | instid1(VALU_DEP_2)
	v_add_co_u32 v5, vcc_lo, s16, v5
	v_add_co_ci_u32_e32 v6, vcc_lo, s17, v6, vcc_lo
	global_load_b32 v13, v[5:6], off
.LBB5_17:                               ;   in Loop: Header=BB5_11 Depth=1
	s_or_b32 exec_lo, exec_lo, s5
	v_dual_mov_b32 v16, 0 :: v_dual_mov_b32 v11, 0
	s_and_saveexec_b32 s5, s4
	s_cbranch_execz .LBB5_19
; %bb.18:                               ;   in Loop: Header=BB5_11 Depth=1
	v_lshlrev_b64 v[5:6], 2, v[3:4]
	s_delay_alu instid0(VALU_DEP_1) | instskip(NEXT) | instid1(VALU_DEP_2)
	v_add_co_u32 v5, vcc_lo, s18, v5
	v_add_co_ci_u32_e32 v6, vcc_lo, s19, v6, vcc_lo
	global_load_b32 v11, v[5:6], off
.LBB5_19:                               ;   in Loop: Header=BB5_11 Depth=1
	s_or_b32 exec_lo, exec_lo, s5
	v_add_co_u32 v5, vcc_lo, v1, s21
	v_add_co_ci_u32_e32 v6, vcc_lo, 0, v2, vcc_lo
	s_delay_alu instid0(VALU_DEP_1) | instskip(NEXT) | instid1(VALU_DEP_1)
	v_cmp_gt_i64_e64 s5, s[12:13], v[5:6]
	;; [unrolled: 25-line block ×3, first 2 shown]
	s_and_saveexec_b32 s15, s6
	s_cbranch_execnz .LBB5_38
; %bb.24:                               ;   in Loop: Header=BB5_11 Depth=1
	s_or_b32 exec_lo, exec_lo, s15
	v_mov_b32_e32 v15, 0
	s_and_saveexec_b32 s15, s6
	s_cbranch_execnz .LBB5_39
.LBB5_25:                               ;   in Loop: Header=BB5_11 Depth=1
	s_or_b32 exec_lo, exec_lo, s15
	s_delay_alu instid0(SALU_CYCLE_1)
	s_and_not1_b32 vcc_lo, exec_lo, s22
	s_cbranch_vccnz .LBB5_27
.LBB5_26:                               ;   in Loop: Header=BB5_11 Depth=1
	global_load_b32 v20, v9, s[8:9]
	s_waitcnt vmcnt(0)
	v_div_scale_f32 v21, null, v20, v20, v10
	s_delay_alu instid0(VALU_DEP_1) | instskip(SKIP_2) | instid1(VALU_DEP_1)
	v_rcp_f32_e32 v22, v21
	s_waitcnt_depctr 0xfff
	v_fma_f32 v23, -v21, v22, 1.0
	v_fmac_f32_e32 v22, v23, v22
	v_div_scale_f32 v23, vcc_lo, v10, v20, v10
	s_delay_alu instid0(VALU_DEP_1) | instskip(NEXT) | instid1(VALU_DEP_1)
	v_mul_f32_e32 v24, v23, v22
	v_fma_f32 v25, -v21, v24, v23
	s_delay_alu instid0(VALU_DEP_1) | instskip(NEXT) | instid1(VALU_DEP_1)
	v_fmac_f32_e32 v24, v25, v22
	v_fma_f32 v21, -v21, v24, v23
	s_delay_alu instid0(VALU_DEP_1) | instskip(NEXT) | instid1(VALU_DEP_1)
	v_div_fmas_f32 v21, v21, v22, v24
	v_div_fixup_f32 v10, v21, v20, v10
.LBB5_27:                               ;   in Loop: Header=BB5_11 Depth=1
	s_and_not1_b32 vcc_lo, exec_lo, s22
	s_cbranch_vccnz .LBB5_29
; %bb.28:                               ;   in Loop: Header=BB5_11 Depth=1
	global_load_b32 v20, v9, s[8:9]
	s_waitcnt vmcnt(0)
	v_div_scale_f32 v21, null, v20, v20, v11
	s_delay_alu instid0(VALU_DEP_1) | instskip(SKIP_2) | instid1(VALU_DEP_1)
	v_rcp_f32_e32 v22, v21
	s_waitcnt_depctr 0xfff
	v_fma_f32 v23, -v21, v22, 1.0
	v_fmac_f32_e32 v22, v23, v22
	v_div_scale_f32 v23, vcc_lo, v11, v20, v11
	s_delay_alu instid0(VALU_DEP_1) | instskip(NEXT) | instid1(VALU_DEP_1)
	v_mul_f32_e32 v24, v23, v22
	v_fma_f32 v25, -v21, v24, v23
	s_delay_alu instid0(VALU_DEP_1) | instskip(NEXT) | instid1(VALU_DEP_1)
	v_fmac_f32_e32 v24, v25, v22
	v_fma_f32 v21, -v21, v24, v23
	s_delay_alu instid0(VALU_DEP_1) | instskip(NEXT) | instid1(VALU_DEP_1)
	v_div_fmas_f32 v21, v21, v22, v24
	v_div_fixup_f32 v11, v21, v20, v11
.LBB5_29:                               ;   in Loop: Header=BB5_11 Depth=1
	s_and_not1_b32 vcc_lo, exec_lo, s22
	s_cbranch_vccnz .LBB5_31
; %bb.30:                               ;   in Loop: Header=BB5_11 Depth=1
	global_load_b32 v20, v9, s[8:9]
	s_waitcnt vmcnt(0)
	v_div_scale_f32 v21, null, v20, v20, v12
	s_delay_alu instid0(VALU_DEP_1) | instskip(SKIP_2) | instid1(VALU_DEP_1)
	v_rcp_f32_e32 v22, v21
	s_waitcnt_depctr 0xfff
	v_fma_f32 v23, -v21, v22, 1.0
	v_fmac_f32_e32 v22, v23, v22
	v_div_scale_f32 v23, vcc_lo, v12, v20, v12
	s_delay_alu instid0(VALU_DEP_1) | instskip(NEXT) | instid1(VALU_DEP_1)
	v_mul_f32_e32 v24, v23, v22
	v_fma_f32 v25, -v21, v24, v23
	s_delay_alu instid0(VALU_DEP_1) | instskip(NEXT) | instid1(VALU_DEP_1)
	v_fmac_f32_e32 v24, v25, v22
	v_fma_f32 v21, -v21, v24, v23
	s_delay_alu instid0(VALU_DEP_1) | instskip(NEXT) | instid1(VALU_DEP_1)
	v_div_fmas_f32 v21, v21, v22, v24
	v_div_fixup_f32 v12, v21, v20, v12
.LBB5_31:                               ;   in Loop: Header=BB5_11 Depth=1
	;; [unrolled: 22-line block ×3, first 2 shown]
	s_and_saveexec_b32 s15, s3
	s_cbranch_execnz .LBB5_40
; %bb.34:                               ;   in Loop: Header=BB5_11 Depth=1
	s_or_b32 exec_lo, exec_lo, s15
	s_and_saveexec_b32 s15, s4
	s_cbranch_execnz .LBB5_41
.LBB5_35:                               ;   in Loop: Header=BB5_11 Depth=1
	s_or_b32 exec_lo, exec_lo, s15
	s_and_saveexec_b32 s15, s5
	s_cbranch_execnz .LBB5_42
.LBB5_36:                               ;   in Loop: Header=BB5_11 Depth=1
	s_or_b32 exec_lo, exec_lo, s15
	s_and_saveexec_b32 s15, s6
	s_cbranch_execnz .LBB5_43
.LBB5_37:                               ;   in Loop: Header=BB5_11 Depth=1
	s_or_b32 exec_lo, exec_lo, s15
	s_delay_alu instid0(SALU_CYCLE_1)
	s_and_not1_b32 vcc_lo, exec_lo, s22
	s_cbranch_vccz .LBB5_44
	s_branch .LBB5_10
.LBB5_38:                               ;   in Loop: Header=BB5_11 Depth=1
	v_lshlrev_b64 v[20:21], 2, v[7:8]
	s_delay_alu instid0(VALU_DEP_1) | instskip(NEXT) | instid1(VALU_DEP_2)
	v_add_co_u32 v20, vcc_lo, s16, v20
	v_add_co_ci_u32_e32 v21, vcc_lo, s17, v21, vcc_lo
	global_load_b32 v17, v[20:21], off
	s_or_b32 exec_lo, exec_lo, s15
	v_mov_b32_e32 v15, 0
	s_and_saveexec_b32 s15, s6
	s_cbranch_execz .LBB5_25
.LBB5_39:                               ;   in Loop: Header=BB5_11 Depth=1
	v_lshlrev_b64 v[20:21], 2, v[7:8]
	s_delay_alu instid0(VALU_DEP_1) | instskip(NEXT) | instid1(VALU_DEP_2)
	v_add_co_u32 v20, vcc_lo, s18, v20
	v_add_co_ci_u32_e32 v21, vcc_lo, s19, v21, vcc_lo
	global_load_b32 v15, v[20:21], off
	s_or_b32 exec_lo, exec_lo, s15
	s_delay_alu instid0(SALU_CYCLE_1)
	s_and_not1_b32 vcc_lo, exec_lo, s22
	s_cbranch_vccz .LBB5_26
	s_branch .LBB5_27
.LBB5_40:                               ;   in Loop: Header=BB5_11 Depth=1
	s_waitcnt vmcnt(0)
	v_cndmask_b32_e64 v20, v10, -v10, s7
	s_delay_alu instid0(VALU_DEP_1) | instskip(NEXT) | instid1(VALU_DEP_1)
	v_fma_f32 v21, v14, v19, v20
	v_cndmask_b32_e64 v22, v20, v21, s2
	v_lshlrev_b64 v[20:21], 2, v[1:2]
	s_delay_alu instid0(VALU_DEP_2) | instskip(NEXT) | instid1(VALU_DEP_2)
	v_fma_f32 v14, -v18, v22, v14
	v_add_co_u32 v20, vcc_lo, s16, v20
	s_delay_alu instid0(VALU_DEP_3)
	v_add_co_ci_u32_e32 v21, vcc_lo, s17, v21, vcc_lo
	global_store_b32 v[20:21], v14, off
	s_or_b32 exec_lo, exec_lo, s15
	s_and_saveexec_b32 s15, s4
	s_cbranch_execz .LBB5_35
.LBB5_41:                               ;   in Loop: Header=BB5_11 Depth=1
	s_waitcnt vmcnt(0)
	v_cndmask_b32_e64 v14, v11, -v11, s7
	s_delay_alu instid0(VALU_DEP_1) | instskip(NEXT) | instid1(VALU_DEP_1)
	v_fma_f32 v20, v13, v19, v14
	v_cndmask_b32_e64 v14, v14, v20, s2
	v_lshlrev_b64 v[20:21], 2, v[3:4]
	s_delay_alu instid0(VALU_DEP_2) | instskip(NEXT) | instid1(VALU_DEP_2)
	v_fma_f32 v22, -v18, v14, v13
	v_add_co_u32 v13, vcc_lo, s16, v20
	s_delay_alu instid0(VALU_DEP_3)
	v_add_co_ci_u32_e32 v14, vcc_lo, s17, v21, vcc_lo
	global_store_b32 v[13:14], v22, off
	s_or_b32 exec_lo, exec_lo, s15
	s_and_saveexec_b32 s15, s5
	s_cbranch_execz .LBB5_36
.LBB5_42:                               ;   in Loop: Header=BB5_11 Depth=1
	s_waitcnt vmcnt(0)
	v_cndmask_b32_e64 v13, v12, -v12, s7
	s_delay_alu instid0(VALU_DEP_1) | instskip(NEXT) | instid1(VALU_DEP_1)
	v_fma_f32 v14, v16, v19, v13
	v_cndmask_b32_e64 v20, v13, v14, s2
	v_lshlrev_b64 v[13:14], 2, v[5:6]
	s_delay_alu instid0(VALU_DEP_2) | instskip(NEXT) | instid1(VALU_DEP_2)
	v_fma_f32 v16, -v18, v20, v16
	v_add_co_u32 v13, vcc_lo, s16, v13
	s_delay_alu instid0(VALU_DEP_3)
	v_add_co_ci_u32_e32 v14, vcc_lo, s17, v14, vcc_lo
	global_store_b32 v[13:14], v16, off
	s_or_b32 exec_lo, exec_lo, s15
	s_and_saveexec_b32 s15, s6
	s_cbranch_execz .LBB5_37
.LBB5_43:                               ;   in Loop: Header=BB5_11 Depth=1
	s_waitcnt vmcnt(0)
	v_cndmask_b32_e64 v13, v15, -v15, s7
	s_delay_alu instid0(VALU_DEP_1) | instskip(NEXT) | instid1(VALU_DEP_1)
	v_fma_f32 v14, v17, v19, v13
	v_cndmask_b32_e64 v16, v13, v14, s2
	v_lshlrev_b64 v[13:14], 2, v[7:8]
	s_delay_alu instid0(VALU_DEP_2) | instskip(NEXT) | instid1(VALU_DEP_2)
	v_fma_f32 v16, -v18, v16, v17
	v_add_co_u32 v13, vcc_lo, s16, v13
	s_delay_alu instid0(VALU_DEP_3) | instskip(SKIP_2) | instid1(SALU_CYCLE_1)
	v_add_co_ci_u32_e32 v14, vcc_lo, s17, v14, vcc_lo
	global_store_b32 v[13:14], v16, off
	s_or_b32 exec_lo, exec_lo, s15
	s_and_not1_b32 vcc_lo, exec_lo, s22
	s_cbranch_vccnz .LBB5_10
.LBB5_44:                               ;   in Loop: Header=BB5_11 Depth=1
	s_and_saveexec_b32 s15, s3
	s_cbranch_execnz .LBB5_48
; %bb.45:                               ;   in Loop: Header=BB5_11 Depth=1
	s_or_b32 exec_lo, exec_lo, s15
	s_and_saveexec_b32 s3, s4
	s_cbranch_execnz .LBB5_49
.LBB5_46:                               ;   in Loop: Header=BB5_11 Depth=1
	s_or_b32 exec_lo, exec_lo, s3
	s_and_saveexec_b32 s3, s5
	s_cbranch_execnz .LBB5_50
.LBB5_47:                               ;   in Loop: Header=BB5_11 Depth=1
	s_or_b32 exec_lo, exec_lo, s3
	s_and_saveexec_b32 s3, s6
	s_cbranch_execz .LBB5_9
	s_branch .LBB5_51
.LBB5_48:                               ;   in Loop: Header=BB5_11 Depth=1
	v_lshlrev_b64 v[1:2], 2, v[1:2]
	s_delay_alu instid0(VALU_DEP_1) | instskip(NEXT) | instid1(VALU_DEP_2)
	v_add_co_u32 v1, vcc_lo, s18, v1
	v_add_co_ci_u32_e32 v2, vcc_lo, s19, v2, vcc_lo
	s_waitcnt vmcnt(0)
	global_store_b32 v[1:2], v10, off
	s_or_b32 exec_lo, exec_lo, s15
	s_and_saveexec_b32 s3, s4
	s_cbranch_execz .LBB5_46
.LBB5_49:                               ;   in Loop: Header=BB5_11 Depth=1
	v_lshlrev_b64 v[1:2], 2, v[3:4]
	s_delay_alu instid0(VALU_DEP_1) | instskip(NEXT) | instid1(VALU_DEP_2)
	v_add_co_u32 v1, vcc_lo, s18, v1
	v_add_co_ci_u32_e32 v2, vcc_lo, s19, v2, vcc_lo
	s_waitcnt vmcnt(0)
	global_store_b32 v[1:2], v11, off
	s_or_b32 exec_lo, exec_lo, s3
	s_and_saveexec_b32 s3, s5
	s_cbranch_execz .LBB5_47
.LBB5_50:                               ;   in Loop: Header=BB5_11 Depth=1
	v_lshlrev_b64 v[1:2], 2, v[5:6]
	s_delay_alu instid0(VALU_DEP_1) | instskip(NEXT) | instid1(VALU_DEP_2)
	v_add_co_u32 v1, vcc_lo, s18, v1
	v_add_co_ci_u32_e32 v2, vcc_lo, s19, v2, vcc_lo
	s_waitcnt vmcnt(0)
	global_store_b32 v[1:2], v12, off
	s_or_b32 exec_lo, exec_lo, s3
	s_and_saveexec_b32 s3, s6
	s_cbranch_execz .LBB5_9
.LBB5_51:                               ;   in Loop: Header=BB5_11 Depth=1
	v_lshlrev_b64 v[1:2], 2, v[7:8]
	s_delay_alu instid0(VALU_DEP_1) | instskip(NEXT) | instid1(VALU_DEP_2)
	v_add_co_u32 v1, vcc_lo, s18, v1
	v_add_co_ci_u32_e32 v2, vcc_lo, s19, v2, vcc_lo
	s_waitcnt vmcnt(0)
	global_store_b32 v[1:2], v15, off
	s_branch .LBB5_9
.LBB5_52:
	s_mov_b32 s2, 0
.LBB5_53:
	s_delay_alu instid0(SALU_CYCLE_1)
	s_and_not1_b32 vcc_lo, exec_lo, s2
	s_cbranch_vccnz .LBB5_67
; %bb.54:
	s_waitcnt vmcnt(0)
	v_dual_mov_b32 v13, 0 :: v_dual_lshlrev_b32 v12, 2, v0
	s_mov_b32 s2, 0
	s_mov_b32 s3, exec_lo
	s_delay_alu instid0(VALU_DEP_1)
	v_cmpx_gt_i64_e64 s[10:11], v[12:13]
	s_cbranch_execz .LBB5_67
; %bb.55:
	s_load_b32 s1, s[0:1], 0xc9c
	v_mov_b32_e32 v1, v13
	s_delay_alu instid0(VALU_DEP_4)
	v_cmp_neq_f32_e64 s0, 0, v19
	s_cmp_lg_u64 s[8:9], 0
	s_cselect_b32 s3, -1, 0
	s_waitcnt lgkmcnt(0)
	s_and_b32 s4, s1, 0xffff
	s_branch .LBB5_57
.LBB5_56:                               ;   in Loop: Header=BB5_57 Depth=1
	v_add_nc_u32_e32 v12, s4, v0
	s_delay_alu instid0(VALU_DEP_1) | instskip(SKIP_1) | instid1(VALU_DEP_2)
	v_lshlrev_b64 v[0:1], 2, v[12:13]
	v_cmp_lt_u32_e64 s1, 0x3fff, v12
	v_cmp_le_u64_e32 vcc_lo, s[10:11], v[0:1]
	v_dual_mov_b32 v0, v12 :: v_dual_mov_b32 v1, v13
	s_delay_alu instid0(VALU_DEP_3) | instskip(NEXT) | instid1(SALU_CYCLE_1)
	s_or_b32 s1, s1, vcc_lo
	s_and_b32 s1, exec_lo, s1
	s_delay_alu instid0(SALU_CYCLE_1) | instskip(NEXT) | instid1(SALU_CYCLE_1)
	s_or_b32 s2, s1, s2
	s_and_not1_b32 exec_lo, exec_lo, s2
	s_cbranch_execz .LBB5_67
.LBB5_57:                               ; =>This Inner Loop Header: Depth=1
	v_lshlrev_b64 v[1:2], 4, v[0:1]
	s_delay_alu instid0(VALU_DEP_1) | instskip(NEXT) | instid1(VALU_DEP_2)
	v_add_co_u32 v14, vcc_lo, s16, v1
	v_add_co_ci_u32_e32 v15, vcc_lo, s17, v2, vcc_lo
	v_add_co_u32 v16, vcc_lo, s18, v1
	v_add_co_ci_u32_e32 v17, vcc_lo, s19, v2, vcc_lo
	s_and_not1_b32 vcc_lo, exec_lo, s3
	global_load_b128 v[1:4], v[14:15], off
	global_load_b128 v[5:8], v[16:17], off
	s_cbranch_vccnz .LBB5_59
; %bb.58:                               ;   in Loop: Header=BB5_57 Depth=1
	global_load_b32 v9, v13, s[8:9]
	s_waitcnt vmcnt(0)
	v_div_scale_f32 v10, null, v9, v9, v5
	s_delay_alu instid0(VALU_DEP_1) | instskip(SKIP_2) | instid1(VALU_DEP_1)
	v_rcp_f32_e32 v11, v10
	s_waitcnt_depctr 0xfff
	v_fma_f32 v12, -v10, v11, 1.0
	v_fmac_f32_e32 v11, v12, v11
	v_div_scale_f32 v12, vcc_lo, v5, v9, v5
	s_delay_alu instid0(VALU_DEP_1) | instskip(NEXT) | instid1(VALU_DEP_1)
	v_mul_f32_e32 v20, v12, v11
	v_fma_f32 v21, -v10, v20, v12
	s_delay_alu instid0(VALU_DEP_1) | instskip(NEXT) | instid1(VALU_DEP_1)
	v_fmac_f32_e32 v20, v21, v11
	v_fma_f32 v10, -v10, v20, v12
	s_delay_alu instid0(VALU_DEP_1) | instskip(NEXT) | instid1(VALU_DEP_1)
	v_div_fmas_f32 v10, v10, v11, v20
	v_div_fixup_f32 v5, v10, v9, v5
.LBB5_59:                               ;   in Loop: Header=BB5_57 Depth=1
	s_and_not1_b32 vcc_lo, exec_lo, s3
	s_cbranch_vccnz .LBB5_61
; %bb.60:                               ;   in Loop: Header=BB5_57 Depth=1
	global_load_b32 v9, v13, s[8:9]
	s_waitcnt vmcnt(0)
	v_div_scale_f32 v10, null, v9, v9, v6
	s_delay_alu instid0(VALU_DEP_1) | instskip(SKIP_2) | instid1(VALU_DEP_1)
	v_rcp_f32_e32 v11, v10
	s_waitcnt_depctr 0xfff
	v_fma_f32 v12, -v10, v11, 1.0
	v_fmac_f32_e32 v11, v12, v11
	v_div_scale_f32 v12, vcc_lo, v6, v9, v6
	s_delay_alu instid0(VALU_DEP_1) | instskip(NEXT) | instid1(VALU_DEP_1)
	v_mul_f32_e32 v20, v12, v11
	v_fma_f32 v21, -v10, v20, v12
	s_delay_alu instid0(VALU_DEP_1) | instskip(NEXT) | instid1(VALU_DEP_1)
	v_fmac_f32_e32 v20, v21, v11
	v_fma_f32 v10, -v10, v20, v12
	s_delay_alu instid0(VALU_DEP_1) | instskip(NEXT) | instid1(VALU_DEP_1)
	v_div_fmas_f32 v10, v10, v11, v20
	v_div_fixup_f32 v6, v10, v9, v6
.LBB5_61:                               ;   in Loop: Header=BB5_57 Depth=1
	s_and_not1_b32 vcc_lo, exec_lo, s3
	s_cbranch_vccnz .LBB5_63
; %bb.62:                               ;   in Loop: Header=BB5_57 Depth=1
	global_load_b32 v9, v13, s[8:9]
	s_waitcnt vmcnt(0)
	v_div_scale_f32 v10, null, v9, v9, v7
	s_delay_alu instid0(VALU_DEP_1) | instskip(SKIP_2) | instid1(VALU_DEP_1)
	v_rcp_f32_e32 v11, v10
	s_waitcnt_depctr 0xfff
	v_fma_f32 v12, -v10, v11, 1.0
	v_fmac_f32_e32 v11, v12, v11
	v_div_scale_f32 v12, vcc_lo, v7, v9, v7
	s_delay_alu instid0(VALU_DEP_1) | instskip(NEXT) | instid1(VALU_DEP_1)
	v_mul_f32_e32 v20, v12, v11
	v_fma_f32 v21, -v10, v20, v12
	s_delay_alu instid0(VALU_DEP_1) | instskip(NEXT) | instid1(VALU_DEP_1)
	v_fmac_f32_e32 v20, v21, v11
	v_fma_f32 v10, -v10, v20, v12
	s_delay_alu instid0(VALU_DEP_1) | instskip(NEXT) | instid1(VALU_DEP_1)
	v_div_fmas_f32 v10, v10, v11, v20
	v_div_fixup_f32 v7, v10, v9, v7
.LBB5_63:                               ;   in Loop: Header=BB5_57 Depth=1
	s_waitcnt vmcnt(0)
	s_delay_alu instid0(VALU_DEP_1) | instskip(SKIP_1) | instid1(VALU_DEP_3)
	v_cndmask_b32_e64 v9, v6, -v6, s7
	v_cndmask_b32_e64 v10, v5, -v5, s7
	;; [unrolled: 1-line block ×3, first 2 shown]
	s_and_not1_b32 vcc_lo, exec_lo, s3
	s_delay_alu instid0(VALU_DEP_3) | instskip(NEXT) | instid1(VALU_DEP_3)
	v_fma_f32 v12, v2, v19, v9
	v_fma_f32 v20, v1, v19, v10
	s_delay_alu instid0(VALU_DEP_3) | instskip(NEXT) | instid1(VALU_DEP_3)
	v_fma_f32 v21, v3, v19, v11
	v_cndmask_b32_e64 v9, v9, v12, s0
	s_delay_alu instid0(VALU_DEP_3) | instskip(NEXT) | instid1(VALU_DEP_3)
	v_cndmask_b32_e64 v12, v10, v20, s0
	v_cndmask_b32_e64 v11, v11, v21, s0
	s_delay_alu instid0(VALU_DEP_3) | instskip(NEXT) | instid1(VALU_DEP_3)
	v_fma_f32 v10, -v18, v9, v2
	v_fma_f32 v9, -v18, v12, v1
	s_delay_alu instid0(VALU_DEP_3)
	v_fma_f32 v11, -v18, v11, v3
	s_cbranch_vccnz .LBB5_65
; %bb.64:                               ;   in Loop: Header=BB5_57 Depth=1
	global_load_b32 v1, v13, s[8:9]
	v_mov_b32_e32 v22, v7
	s_waitcnt vmcnt(0)
	v_div_scale_f32 v2, null, v1, v1, v8
	v_div_scale_f32 v20, vcc_lo, v8, v1, v8
	s_delay_alu instid0(VALU_DEP_2) | instskip(SKIP_2) | instid1(VALU_DEP_1)
	v_rcp_f32_e32 v3, v2
	s_waitcnt_depctr 0xfff
	v_fma_f32 v12, -v2, v3, 1.0
	v_fmac_f32_e32 v3, v12, v3
	s_delay_alu instid0(VALU_DEP_1) | instskip(NEXT) | instid1(VALU_DEP_1)
	v_mul_f32_e32 v12, v20, v3
	v_fma_f32 v21, -v2, v12, v20
	s_delay_alu instid0(VALU_DEP_1) | instskip(NEXT) | instid1(VALU_DEP_1)
	v_dual_fmac_f32 v12, v21, v3 :: v_dual_mov_b32 v21, v6
	v_fma_f32 v2, -v2, v12, v20
	v_mov_b32_e32 v20, v5
	s_delay_alu instid0(VALU_DEP_2) | instskip(NEXT) | instid1(VALU_DEP_1)
	v_div_fmas_f32 v2, v2, v3, v12
	v_div_fixup_f32 v23, v2, v1, v8
	s_delay_alu instid0(VALU_DEP_1) | instskip(NEXT) | instid1(VALU_DEP_1)
	v_cndmask_b32_e64 v1, v23, -v23, s7
	v_fma_f32 v2, v4, v19, v1
	s_delay_alu instid0(VALU_DEP_1) | instskip(NEXT) | instid1(VALU_DEP_1)
	v_cndmask_b32_e64 v1, v1, v2, s0
	v_fma_f32 v12, -v18, v1, v4
	global_store_b128 v[14:15], v[9:12], off
	global_store_b128 v[16:17], v[20:23], off
	s_cbranch_execnz .LBB5_56
	s_branch .LBB5_66
.LBB5_65:                               ;   in Loop: Header=BB5_57 Depth=1
.LBB5_66:                               ;   in Loop: Header=BB5_57 Depth=1
	v_cndmask_b32_e64 v1, v8, -v8, s7
	s_delay_alu instid0(VALU_DEP_1) | instskip(NEXT) | instid1(VALU_DEP_1)
	v_fma_f32 v2, v4, v19, v1
	v_cndmask_b32_e64 v1, v1, v2, s0
	s_delay_alu instid0(VALU_DEP_1)
	v_fma_f32 v12, -v18, v1, v4
	global_store_b128 v[14:15], v[9:12], off
	s_branch .LBB5_56
.LBB5_67:
	s_nop 0
	s_sendmsg sendmsg(MSG_DEALLOC_VGPRS)
	s_endpgm
.LBB5_68:
                                        ; implicit-def: $sgpr4
	s_load_b32 s2, s[2:3], 0x740
	v_mov_b32_e32 v18, s4
	s_branch .LBB5_5
	.section	.rodata,"a",@progbits
	.p2align	6, 0x0
	.amdhsa_kernel _ZN2at6native12_GLOBAL__N_125multi_tensor_apply_kernelINS1_18TensorListMetadataILi2EEENS1_19FusedSgdMathFunctorIfLi2EEEJddPfddbbbS7_S7_EEEvT_T0_DpT1_
		.amdhsa_group_segment_fixed_size 0
		.amdhsa_private_segment_fixed_size 0
		.amdhsa_kernarg_size 3472
		.amdhsa_user_sgpr_count 15
		.amdhsa_user_sgpr_dispatch_ptr 0
		.amdhsa_user_sgpr_queue_ptr 0
		.amdhsa_user_sgpr_kernarg_segment_ptr 1
		.amdhsa_user_sgpr_dispatch_id 0
		.amdhsa_user_sgpr_private_segment_size 0
		.amdhsa_wavefront_size32 1
		.amdhsa_uses_dynamic_stack 0
		.amdhsa_enable_private_segment 0
		.amdhsa_system_sgpr_workgroup_id_x 1
		.amdhsa_system_sgpr_workgroup_id_y 0
		.amdhsa_system_sgpr_workgroup_id_z 0
		.amdhsa_system_sgpr_workgroup_info 0
		.amdhsa_system_vgpr_workitem_id 0
		.amdhsa_next_free_vgpr 26
		.amdhsa_next_free_sgpr 25
		.amdhsa_reserve_vcc 1
		.amdhsa_float_round_mode_32 0
		.amdhsa_float_round_mode_16_64 0
		.amdhsa_float_denorm_mode_32 3
		.amdhsa_float_denorm_mode_16_64 3
		.amdhsa_dx10_clamp 1
		.amdhsa_ieee_mode 1
		.amdhsa_fp16_overflow 0
		.amdhsa_workgroup_processor_mode 1
		.amdhsa_memory_ordered 1
		.amdhsa_forward_progress 0
		.amdhsa_shared_vgpr_count 0
		.amdhsa_exception_fp_ieee_invalid_op 0
		.amdhsa_exception_fp_denorm_src 0
		.amdhsa_exception_fp_ieee_div_zero 0
		.amdhsa_exception_fp_ieee_overflow 0
		.amdhsa_exception_fp_ieee_underflow 0
		.amdhsa_exception_fp_ieee_inexact 0
		.amdhsa_exception_int_div_zero 0
	.end_amdhsa_kernel
	.section	.text._ZN2at6native12_GLOBAL__N_125multi_tensor_apply_kernelINS1_18TensorListMetadataILi2EEENS1_19FusedSgdMathFunctorIfLi2EEEJddPfddbbbS7_S7_EEEvT_T0_DpT1_,"axG",@progbits,_ZN2at6native12_GLOBAL__N_125multi_tensor_apply_kernelINS1_18TensorListMetadataILi2EEENS1_19FusedSgdMathFunctorIfLi2EEEJddPfddbbbS7_S7_EEEvT_T0_DpT1_,comdat
.Lfunc_end5:
	.size	_ZN2at6native12_GLOBAL__N_125multi_tensor_apply_kernelINS1_18TensorListMetadataILi2EEENS1_19FusedSgdMathFunctorIfLi2EEEJddPfddbbbS7_S7_EEEvT_T0_DpT1_, .Lfunc_end5-_ZN2at6native12_GLOBAL__N_125multi_tensor_apply_kernelINS1_18TensorListMetadataILi2EEENS1_19FusedSgdMathFunctorIfLi2EEEJddPfddbbbS7_S7_EEEvT_T0_DpT1_
                                        ; -- End function
	.section	.AMDGPU.csdata,"",@progbits
; Kernel info:
; codeLenInByte = 3072
; NumSgprs: 27
; NumVgprs: 26
; ScratchSize: 0
; MemoryBound: 0
; FloatMode: 240
; IeeeMode: 1
; LDSByteSize: 0 bytes/workgroup (compile time only)
; SGPRBlocks: 3
; VGPRBlocks: 3
; NumSGPRsForWavesPerEU: 27
; NumVGPRsForWavesPerEU: 26
; Occupancy: 16
; WaveLimiterHint : 0
; COMPUTE_PGM_RSRC2:SCRATCH_EN: 0
; COMPUTE_PGM_RSRC2:USER_SGPR: 15
; COMPUTE_PGM_RSRC2:TRAP_HANDLER: 0
; COMPUTE_PGM_RSRC2:TGID_X_EN: 1
; COMPUTE_PGM_RSRC2:TGID_Y_EN: 0
; COMPUTE_PGM_RSRC2:TGID_Z_EN: 0
; COMPUTE_PGM_RSRC2:TIDIG_COMP_CNT: 0
	.section	.text._ZN2at6native12_GLOBAL__N_125multi_tensor_apply_kernelINS1_18TensorListMetadataILi2EEENS1_19FusedSgdMathFunctorIN3c104HalfELi2EEEJddPfddbbbS9_S9_EEEvT_T0_DpT1_,"axG",@progbits,_ZN2at6native12_GLOBAL__N_125multi_tensor_apply_kernelINS1_18TensorListMetadataILi2EEENS1_19FusedSgdMathFunctorIN3c104HalfELi2EEEJddPfddbbbS9_S9_EEEvT_T0_DpT1_,comdat
	.globl	_ZN2at6native12_GLOBAL__N_125multi_tensor_apply_kernelINS1_18TensorListMetadataILi2EEENS1_19FusedSgdMathFunctorIN3c104HalfELi2EEEJddPfddbbbS9_S9_EEEvT_T0_DpT1_ ; -- Begin function _ZN2at6native12_GLOBAL__N_125multi_tensor_apply_kernelINS1_18TensorListMetadataILi2EEENS1_19FusedSgdMathFunctorIN3c104HalfELi2EEEJddPfddbbbS9_S9_EEEvT_T0_DpT1_
	.p2align	8
	.type	_ZN2at6native12_GLOBAL__N_125multi_tensor_apply_kernelINS1_18TensorListMetadataILi2EEENS1_19FusedSgdMathFunctorIN3c104HalfELi2EEEJddPfddbbbS9_S9_EEEvT_T0_DpT1_,@function
_ZN2at6native12_GLOBAL__N_125multi_tensor_apply_kernelINS1_18TensorListMetadataILi2EEENS1_19FusedSgdMathFunctorIN3c104HalfELi2EEEJddPfddbbbS9_S9_EEEvT_T0_DpT1_: ; @_ZN2at6native12_GLOBAL__N_125multi_tensor_apply_kernelINS1_18TensorListMetadataILi2EEENS1_19FusedSgdMathFunctorIN3c104HalfELi2EEEJddPfddbbbS9_S9_EEEvT_T0_DpT1_
; %bb.0:
	s_load_b128 s[8:11], s[0:1], 0xc80
	s_waitcnt lgkmcnt(0)
	s_cmp_eq_u64 s[10:11], 0
	s_cselect_b32 s2, -1, 0
	s_delay_alu instid0(SALU_CYCLE_1)
	s_and_b32 vcc_lo, exec_lo, s2
	s_cbranch_vccnz .LBB6_2
; %bb.1:
	s_load_b32 s2, s[10:11], 0x0
	s_waitcnt lgkmcnt(0)
	v_cmp_neq_f32_e64 s2, s2, 1.0
.LBB6_2:
	s_delay_alu instid0(VALU_DEP_1)
	s_and_not1_b32 vcc_lo, exec_lo, s2
	s_cbranch_vccnz .LBB6_59
; %bb.3:
	v_mov_b32_e32 v1, s15
	s_add_u32 s2, s0, s15
	s_mul_hi_u32 s3, s15, 3
	s_mul_i32 s15, s15, 3
	s_addc_u32 s11, s1, 0
	global_load_u8 v1, v1, s[0:1] offset:1536
	s_load_b128 s[4:7], s[0:1], 0xc60
	s_add_u32 s2, s2, s15
	s_addc_u32 s3, s11, s3
	s_mov_b32 s11, 0
	s_waitcnt lgkmcnt(0)
	s_cmp_eq_u64 s[4:5], 0
	s_waitcnt vmcnt(0)
	v_readfirstlane_b32 s10, v1
	s_cbranch_scc1 .LBB6_60
; %bb.4:
	s_load_b32 s4, s[4:5], 0x0
	s_load_b32 s2, s[2:3], 0x740
	s_waitcnt lgkmcnt(0)
	v_mov_b32_e32 v11, s4
	s_and_not1_b32 vcc_lo, exec_lo, s11
	s_cbranch_vccnz .LBB6_6
.LBB6_5:
	v_cvt_f32_f64_e32 v11, s[6:7]
.LBB6_6:
	s_clause 0x1
	s_load_b32 s3, s[0:1], 0xc78
	s_load_b64 s[4:5], s[0:1], 0xc50
	s_mov_b32 s21, 0
	s_delay_alu instid0(SALU_CYCLE_1)
	s_mov_b32 s23, s21
	s_waitcnt lgkmcnt(0)
	s_bitcmp1_b32 s3, 8
	v_cvt_f32_f64_e32 v12, s[4:5]
	s_cselect_b32 s7, -1, 0
	s_and_b32 s3, s10, 0xff
	s_delay_alu instid0(SALU_CYCLE_1)
	s_lshl_b32 s3, s3, 3
	s_clause 0x2
	s_load_b64 s[12:13], s[0:1], s3 offset:0x400
	s_load_b64 s[4:5], s[0:1], s3 offset:0x0
	s_load_b64 s[14:15], s[0:1], s3 offset:0x200
	s_ashr_i32 s3, s2, 31
	s_delay_alu instid0(SALU_CYCLE_1) | instskip(SKIP_4) | instid1(SALU_CYCLE_1)
	s_lshl_b64 s[10:11], s[2:3], 16
	s_waitcnt lgkmcnt(0)
	s_sub_u32 s10, s12, s10
	s_subb_u32 s11, s13, s11
	s_lshl_b64 s[2:3], s[2:3], 17
	s_add_u32 s16, s4, s2
	s_addc_u32 s17, s5, s3
	s_and_b32 s20, s16, 7
	s_add_u32 s18, s14, s2
	s_addc_u32 s19, s15, s3
	s_and_b32 s22, s18, 7
	s_and_b32 s2, s12, 3
	s_mov_b32 s3, s21
	s_delay_alu instid0(SALU_CYCLE_1) | instskip(NEXT) | instid1(SALU_CYCLE_1)
	s_or_b64 s[2:3], s[2:3], s[22:23]
	s_or_b64 s[2:3], s[2:3], s[20:21]
	s_delay_alu instid0(SALU_CYCLE_1)
	s_cmp_eq_u64 s[2:3], 0
	s_mov_b32 s2, -1
	s_cbranch_scc1 .LBB6_45
; %bb.7:
	v_cmp_lt_i64_e64 s2, s[10:11], 1
	s_delay_alu instid0(VALU_DEP_1)
	s_and_b32 vcc_lo, exec_lo, s2
	s_cbranch_vccnz .LBB6_44
; %bb.8:
	s_load_b32 s2, s[0:1], 0xc9c
	v_cmp_gt_i64_e64 s3, 0x10000, s[10:11]
	s_mov_b64 s[14:15], 0
	s_delay_alu instid0(VALU_DEP_1)
	s_and_b32 s3, s3, exec_lo
	s_cselect_b32 s13, s11, 0
	s_cselect_b32 s12, s10, 0x10000
	s_waitcnt lgkmcnt(0)
	s_and_b32 s20, s2, 0xffff
	v_cmp_neq_f32_e64 s2, 0, v12
	s_lshl_b32 s21, s20, 1
	s_cmp_lg_u64 s[8:9], 0
	s_mul_i32 s23, s20, 3
	s_cselect_b32 s22, -1, 0
	s_lshl_b32 s24, s20, 2
	s_branch .LBB6_11
.LBB6_9:                                ;   in Loop: Header=BB6_11 Depth=1
	s_or_b32 exec_lo, exec_lo, s3
.LBB6_10:                               ;   in Loop: Header=BB6_11 Depth=1
	s_add_i32 s14, s14, s24
	s_delay_alu instid0(SALU_CYCLE_1) | instskip(NEXT) | instid1(SALU_CYCLE_1)
	s_ashr_i32 s15, s14, 31
	v_cmp_lt_i64_e64 s3, s[14:15], s[12:13]
	s_delay_alu instid0(VALU_DEP_1)
	s_and_b32 vcc_lo, exec_lo, s3
	s_cbranch_vccz .LBB6_44
.LBB6_11:                               ; =>This Inner Loop Header: Depth=1
	v_add_co_u32 v1, s3, s14, v0
	s_delay_alu instid0(VALU_DEP_1) | instskip(SKIP_1) | instid1(VALU_DEP_2)
	v_add_co_ci_u32_e64 v2, null, s15, 0, s3
	v_dual_mov_b32 v16, 0 :: v_dual_mov_b32 v9, 0
	v_cmp_gt_i64_e64 s3, s[12:13], v[1:2]
	s_delay_alu instid0(VALU_DEP_1)
	s_and_saveexec_b32 s4, s3
	s_cbranch_execz .LBB6_13
; %bb.12:                               ;   in Loop: Header=BB6_11 Depth=1
	v_lshlrev_b64 v[3:4], 1, v[1:2]
	s_delay_alu instid0(VALU_DEP_1) | instskip(NEXT) | instid1(VALU_DEP_2)
	v_add_co_u32 v5, vcc_lo, s16, v3
	v_add_co_ci_u32_e32 v6, vcc_lo, s17, v4, vcc_lo
	v_add_co_u32 v3, vcc_lo, s18, v3
	v_add_co_ci_u32_e32 v4, vcc_lo, s19, v4, vcc_lo
	global_load_u16 v16, v[5:6], off
	global_load_u16 v9, v[3:4], off
.LBB6_13:                               ;   in Loop: Header=BB6_11 Depth=1
	s_or_b32 exec_lo, exec_lo, s4
	v_add_co_u32 v3, vcc_lo, v1, s20
	v_add_co_ci_u32_e32 v4, vcc_lo, 0, v2, vcc_lo
	v_dual_mov_b32 v14, 0 :: v_dual_mov_b32 v17, 0
	v_mov_b32_e32 v10, 0
	s_delay_alu instid0(VALU_DEP_3) | instskip(NEXT) | instid1(VALU_DEP_1)
	v_cmp_gt_i64_e64 s4, s[12:13], v[3:4]
	s_and_saveexec_b32 s5, s4
	s_cbranch_execz .LBB6_15
; %bb.14:                               ;   in Loop: Header=BB6_11 Depth=1
	v_lshlrev_b64 v[5:6], 1, v[3:4]
	s_delay_alu instid0(VALU_DEP_1) | instskip(NEXT) | instid1(VALU_DEP_2)
	v_add_co_u32 v7, vcc_lo, s16, v5
	v_add_co_ci_u32_e32 v8, vcc_lo, s17, v6, vcc_lo
	v_add_co_u32 v5, vcc_lo, s18, v5
	v_add_co_ci_u32_e32 v6, vcc_lo, s19, v6, vcc_lo
	global_load_u16 v17, v[7:8], off
	global_load_u16 v10, v[5:6], off
.LBB6_15:                               ;   in Loop: Header=BB6_11 Depth=1
	s_or_b32 exec_lo, exec_lo, s5
	v_add_co_u32 v5, vcc_lo, v1, s21
	v_add_co_ci_u32_e32 v6, vcc_lo, 0, v2, vcc_lo
	v_mov_b32_e32 v13, 0
	s_delay_alu instid0(VALU_DEP_2) | instskip(NEXT) | instid1(VALU_DEP_1)
	v_cmp_gt_i64_e64 s5, s[12:13], v[5:6]
	s_and_saveexec_b32 s6, s5
	s_cbranch_execz .LBB6_17
; %bb.16:                               ;   in Loop: Header=BB6_11 Depth=1
	v_lshlrev_b64 v[7:8], 1, v[5:6]
	s_delay_alu instid0(VALU_DEP_1) | instskip(NEXT) | instid1(VALU_DEP_2)
	v_add_co_u32 v13, vcc_lo, s16, v7
	v_add_co_ci_u32_e32 v14, vcc_lo, s17, v8, vcc_lo
	v_add_co_u32 v7, vcc_lo, s18, v7
	v_add_co_ci_u32_e32 v8, vcc_lo, s19, v8, vcc_lo
	global_load_u16 v14, v[13:14], off
	global_load_u16 v13, v[7:8], off
.LBB6_17:                               ;   in Loop: Header=BB6_11 Depth=1
	s_or_b32 exec_lo, exec_lo, s6
	v_add_co_u32 v7, vcc_lo, v1, s23
	v_add_co_ci_u32_e32 v8, vcc_lo, 0, v2, vcc_lo
	v_dual_mov_b32 v18, 0 :: v_dual_mov_b32 v15, 0
	s_delay_alu instid0(VALU_DEP_2) | instskip(NEXT) | instid1(VALU_DEP_1)
	v_cmp_gt_i64_e64 s6, s[12:13], v[7:8]
	s_and_saveexec_b32 s15, s6
	s_cbranch_execz .LBB6_19
; %bb.18:                               ;   in Loop: Header=BB6_11 Depth=1
	v_lshlrev_b64 v[18:19], 1, v[7:8]
	s_delay_alu instid0(VALU_DEP_1) | instskip(NEXT) | instid1(VALU_DEP_2)
	v_add_co_u32 v20, vcc_lo, s16, v18
	v_add_co_ci_u32_e32 v21, vcc_lo, s17, v19, vcc_lo
	v_add_co_u32 v22, vcc_lo, s18, v18
	v_add_co_ci_u32_e32 v23, vcc_lo, s19, v19, vcc_lo
	global_load_u16 v18, v[20:21], off
	global_load_u16 v15, v[22:23], off
.LBB6_19:                               ;   in Loop: Header=BB6_11 Depth=1
	s_or_b32 exec_lo, exec_lo, s15
	s_waitcnt vmcnt(0)
	v_cvt_f32_f16_e32 v19, v9
	s_and_not1_b32 vcc_lo, exec_lo, s22
	s_cbranch_vccnz .LBB6_21
; %bb.20:                               ;   in Loop: Header=BB6_11 Depth=1
	s_load_b32 s15, s[8:9], 0x0
	s_waitcnt lgkmcnt(0)
	v_div_scale_f32 v9, null, s15, s15, v19
	s_delay_alu instid0(VALU_DEP_1) | instskip(SKIP_2) | instid1(VALU_DEP_1)
	v_rcp_f32_e32 v20, v9
	s_waitcnt_depctr 0xfff
	v_fma_f32 v21, -v9, v20, 1.0
	v_fmac_f32_e32 v20, v21, v20
	v_div_scale_f32 v21, vcc_lo, v19, s15, v19
	s_delay_alu instid0(VALU_DEP_1) | instskip(NEXT) | instid1(VALU_DEP_1)
	v_mul_f32_e32 v22, v21, v20
	v_fma_f32 v23, -v9, v22, v21
	s_delay_alu instid0(VALU_DEP_1) | instskip(NEXT) | instid1(VALU_DEP_1)
	v_fmac_f32_e32 v22, v23, v20
	v_fma_f32 v9, -v9, v22, v21
	s_delay_alu instid0(VALU_DEP_1) | instskip(NEXT) | instid1(VALU_DEP_1)
	v_div_fmas_f32 v9, v9, v20, v22
	v_div_fixup_f32 v19, v9, s15, v19
	s_delay_alu instid0(VALU_DEP_1)
	v_cvt_f16_f32_e32 v9, v19
.LBB6_21:                               ;   in Loop: Header=BB6_11 Depth=1
	v_cvt_f32_f16_e32 v20, v10
	s_and_not1_b32 vcc_lo, exec_lo, s22
	s_cbranch_vccnz .LBB6_23
; %bb.22:                               ;   in Loop: Header=BB6_11 Depth=1
	s_load_b32 s15, s[8:9], 0x0
	s_waitcnt lgkmcnt(0)
	v_div_scale_f32 v10, null, s15, s15, v20
	s_delay_alu instid0(VALU_DEP_1) | instskip(SKIP_2) | instid1(VALU_DEP_1)
	v_rcp_f32_e32 v21, v10
	s_waitcnt_depctr 0xfff
	v_fma_f32 v22, -v10, v21, 1.0
	v_fmac_f32_e32 v21, v22, v21
	v_div_scale_f32 v22, vcc_lo, v20, s15, v20
	s_delay_alu instid0(VALU_DEP_1) | instskip(NEXT) | instid1(VALU_DEP_1)
	v_mul_f32_e32 v23, v22, v21
	v_fma_f32 v24, -v10, v23, v22
	s_delay_alu instid0(VALU_DEP_1) | instskip(NEXT) | instid1(VALU_DEP_1)
	v_fmac_f32_e32 v23, v24, v21
	v_fma_f32 v10, -v10, v23, v22
	s_delay_alu instid0(VALU_DEP_1) | instskip(NEXT) | instid1(VALU_DEP_1)
	v_div_fmas_f32 v10, v10, v21, v23
	v_div_fixup_f32 v20, v10, s15, v20
	s_delay_alu instid0(VALU_DEP_1)
	v_cvt_f16_f32_e32 v10, v20
.LBB6_23:                               ;   in Loop: Header=BB6_11 Depth=1
	;; [unrolled: 25-line block ×4, first 2 shown]
	s_and_saveexec_b32 s15, s3
	s_cbranch_execnz .LBB6_32
; %bb.28:                               ;   in Loop: Header=BB6_11 Depth=1
	s_or_b32 exec_lo, exec_lo, s15
	s_and_saveexec_b32 s15, s4
	s_cbranch_execnz .LBB6_33
.LBB6_29:                               ;   in Loop: Header=BB6_11 Depth=1
	s_or_b32 exec_lo, exec_lo, s15
	s_and_saveexec_b32 s15, s5
	s_cbranch_execnz .LBB6_34
.LBB6_30:                               ;   in Loop: Header=BB6_11 Depth=1
	s_or_b32 exec_lo, exec_lo, s15
	s_and_saveexec_b32 s15, s6
	s_cbranch_execnz .LBB6_35
.LBB6_31:                               ;   in Loop: Header=BB6_11 Depth=1
	s_or_b32 exec_lo, exec_lo, s15
	s_delay_alu instid0(SALU_CYCLE_1)
	s_and_not1_b32 vcc_lo, exec_lo, s22
	s_cbranch_vccz .LBB6_36
	s_branch .LBB6_10
.LBB6_32:                               ;   in Loop: Header=BB6_11 Depth=1
	v_cndmask_b32_e64 v19, v19, -v19, s7
	s_delay_alu instid0(VALU_DEP_1) | instskip(NEXT) | instid1(VALU_DEP_1)
	v_fma_mix_f32 v23, v12, v16, v19 op_sel_hi:[0,1,0]
	v_cndmask_b32_e64 v19, v19, v23, s2
	v_lshlrev_b64 v[23:24], 1, v[1:2]
	s_delay_alu instid0(VALU_DEP_2) | instskip(NEXT) | instid1(VALU_DEP_2)
	v_fma_mixlo_f16 v16, -v11, v19, v16 op_sel_hi:[0,0,1]
	v_add_co_u32 v23, vcc_lo, s16, v23
	s_delay_alu instid0(VALU_DEP_3)
	v_add_co_ci_u32_e32 v24, vcc_lo, s17, v24, vcc_lo
	global_store_b16 v[23:24], v16, off
	s_or_b32 exec_lo, exec_lo, s15
	s_and_saveexec_b32 s15, s4
	s_cbranch_execz .LBB6_29
.LBB6_33:                               ;   in Loop: Header=BB6_11 Depth=1
	v_cndmask_b32_e64 v16, v20, -v20, s7
	s_delay_alu instid0(VALU_DEP_1) | instskip(NEXT) | instid1(VALU_DEP_1)
	v_fma_mix_f32 v19, v12, v17, v16 op_sel_hi:[0,1,0]
	v_cndmask_b32_e64 v16, v16, v19, s2
	v_lshlrev_b64 v[19:20], 1, v[3:4]
	s_delay_alu instid0(VALU_DEP_2) | instskip(NEXT) | instid1(VALU_DEP_2)
	v_fma_mixlo_f16 v23, -v11, v16, v17 op_sel_hi:[0,0,1]
	v_add_co_u32 v16, vcc_lo, s16, v19
	s_delay_alu instid0(VALU_DEP_3)
	v_add_co_ci_u32_e32 v17, vcc_lo, s17, v20, vcc_lo
	global_store_b16 v[16:17], v23, off
	s_or_b32 exec_lo, exec_lo, s15
	s_and_saveexec_b32 s15, s5
	s_cbranch_execz .LBB6_30
.LBB6_34:                               ;   in Loop: Header=BB6_11 Depth=1
	v_cndmask_b32_e64 v16, v21, -v21, s7
	s_delay_alu instid0(VALU_DEP_1) | instskip(NEXT) | instid1(VALU_DEP_1)
	v_fma_mix_f32 v17, v12, v14, v16 op_sel_hi:[0,1,0]
	v_cndmask_b32_e64 v19, v16, v17, s2
	v_lshlrev_b64 v[16:17], 1, v[5:6]
	s_delay_alu instid0(VALU_DEP_2) | instskip(NEXT) | instid1(VALU_DEP_2)
	v_fma_mixlo_f16 v14, -v11, v19, v14 op_sel_hi:[0,0,1]
	v_add_co_u32 v16, vcc_lo, s16, v16
	s_delay_alu instid0(VALU_DEP_3)
	v_add_co_ci_u32_e32 v17, vcc_lo, s17, v17, vcc_lo
	global_store_b16 v[16:17], v14, off
	s_or_b32 exec_lo, exec_lo, s15
	s_and_saveexec_b32 s15, s6
	s_cbranch_execz .LBB6_31
.LBB6_35:                               ;   in Loop: Header=BB6_11 Depth=1
	v_cndmask_b32_e64 v14, v22, -v22, s7
	s_delay_alu instid0(VALU_DEP_1) | instskip(NEXT) | instid1(VALU_DEP_1)
	v_fma_mix_f32 v16, v12, v18, v14 op_sel_hi:[0,1,0]
	v_cndmask_b32_e64 v14, v14, v16, s2
	v_lshlrev_b64 v[16:17], 1, v[7:8]
	s_delay_alu instid0(VALU_DEP_2) | instskip(NEXT) | instid1(VALU_DEP_2)
	v_fma_mixlo_f16 v14, -v11, v14, v18 op_sel_hi:[0,0,1]
	v_add_co_u32 v16, vcc_lo, s16, v16
	s_delay_alu instid0(VALU_DEP_3) | instskip(SKIP_2) | instid1(SALU_CYCLE_1)
	v_add_co_ci_u32_e32 v17, vcc_lo, s17, v17, vcc_lo
	global_store_b16 v[16:17], v14, off
	s_or_b32 exec_lo, exec_lo, s15
	s_and_not1_b32 vcc_lo, exec_lo, s22
	s_cbranch_vccnz .LBB6_10
.LBB6_36:                               ;   in Loop: Header=BB6_11 Depth=1
	s_and_saveexec_b32 s15, s3
	s_cbranch_execnz .LBB6_40
; %bb.37:                               ;   in Loop: Header=BB6_11 Depth=1
	s_or_b32 exec_lo, exec_lo, s15
	s_and_saveexec_b32 s3, s4
	s_cbranch_execnz .LBB6_41
.LBB6_38:                               ;   in Loop: Header=BB6_11 Depth=1
	s_or_b32 exec_lo, exec_lo, s3
	s_and_saveexec_b32 s3, s5
	s_cbranch_execnz .LBB6_42
.LBB6_39:                               ;   in Loop: Header=BB6_11 Depth=1
	s_or_b32 exec_lo, exec_lo, s3
	s_and_saveexec_b32 s3, s6
	s_cbranch_execz .LBB6_9
	s_branch .LBB6_43
.LBB6_40:                               ;   in Loop: Header=BB6_11 Depth=1
	v_lshlrev_b64 v[1:2], 1, v[1:2]
	s_delay_alu instid0(VALU_DEP_1) | instskip(NEXT) | instid1(VALU_DEP_2)
	v_add_co_u32 v1, vcc_lo, s18, v1
	v_add_co_ci_u32_e32 v2, vcc_lo, s19, v2, vcc_lo
	global_store_b16 v[1:2], v9, off
	s_or_b32 exec_lo, exec_lo, s15
	s_and_saveexec_b32 s3, s4
	s_cbranch_execz .LBB6_38
.LBB6_41:                               ;   in Loop: Header=BB6_11 Depth=1
	v_lshlrev_b64 v[1:2], 1, v[3:4]
	s_delay_alu instid0(VALU_DEP_1) | instskip(NEXT) | instid1(VALU_DEP_2)
	v_add_co_u32 v1, vcc_lo, s18, v1
	v_add_co_ci_u32_e32 v2, vcc_lo, s19, v2, vcc_lo
	global_store_b16 v[1:2], v10, off
	s_or_b32 exec_lo, exec_lo, s3
	s_and_saveexec_b32 s3, s5
	s_cbranch_execz .LBB6_39
.LBB6_42:                               ;   in Loop: Header=BB6_11 Depth=1
	v_lshlrev_b64 v[1:2], 1, v[5:6]
	s_delay_alu instid0(VALU_DEP_1) | instskip(NEXT) | instid1(VALU_DEP_2)
	v_add_co_u32 v1, vcc_lo, s18, v1
	v_add_co_ci_u32_e32 v2, vcc_lo, s19, v2, vcc_lo
	global_store_b16 v[1:2], v13, off
	s_or_b32 exec_lo, exec_lo, s3
	s_and_saveexec_b32 s3, s6
	s_cbranch_execz .LBB6_9
.LBB6_43:                               ;   in Loop: Header=BB6_11 Depth=1
	v_lshlrev_b64 v[1:2], 1, v[7:8]
	s_delay_alu instid0(VALU_DEP_1) | instskip(NEXT) | instid1(VALU_DEP_2)
	v_add_co_u32 v1, vcc_lo, s18, v1
	v_add_co_ci_u32_e32 v2, vcc_lo, s19, v2, vcc_lo
	global_store_b16 v[1:2], v15, off
	s_branch .LBB6_9
.LBB6_44:
	s_mov_b32 s2, 0
.LBB6_45:
	s_delay_alu instid0(SALU_CYCLE_1)
	s_and_not1_b32 vcc_lo, exec_lo, s2
	s_cbranch_vccnz .LBB6_59
; %bb.46:
	v_dual_mov_b32 v2, 0 :: v_dual_lshlrev_b32 v1, 2, v0
	s_mov_b32 s2, 0
	s_mov_b32 s3, exec_lo
	s_delay_alu instid0(VALU_DEP_1)
	v_cmpx_gt_i64_e64 s[10:11], v[1:2]
	s_cbranch_execz .LBB6_59
; %bb.47:
	s_load_b32 s1, s[0:1], 0xc9c
	v_mov_b32_e32 v1, v2
	s_delay_alu instid0(VALU_DEP_4)
	v_cmp_neq_f32_e64 s0, 0, v12
	s_cmp_lg_u64 s[8:9], 0
	s_cselect_b32 s3, -1, 0
	s_waitcnt lgkmcnt(0)
	s_and_b32 s4, s1, 0xffff
	s_branch .LBB6_49
.LBB6_48:                               ;   in Loop: Header=BB6_49 Depth=1
	v_add_nc_u32_e32 v1, s4, v0
	s_delay_alu instid0(VALU_DEP_1) | instskip(SKIP_3) | instid1(VALU_DEP_4)
	v_lshlrev_b64 v[3:4], 2, v[1:2]
	v_cmp_lt_u32_e64 s1, 0x3fff, v1
	v_mov_b32_e32 v0, v1
	v_mov_b32_e32 v1, v2
	v_cmp_le_u64_e32 vcc_lo, s[10:11], v[3:4]
	s_delay_alu instid0(VALU_DEP_4) | instskip(NEXT) | instid1(SALU_CYCLE_1)
	s_or_b32 s1, s1, vcc_lo
	s_and_b32 s1, exec_lo, s1
	s_delay_alu instid0(SALU_CYCLE_1) | instskip(NEXT) | instid1(SALU_CYCLE_1)
	s_or_b32 s2, s1, s2
	s_and_not1_b32 exec_lo, exec_lo, s2
	s_cbranch_execz .LBB6_59
.LBB6_49:                               ; =>This Inner Loop Header: Depth=1
	v_lshlrev_b64 v[5:6], 3, v[0:1]
	s_delay_alu instid0(VALU_DEP_1) | instskip(NEXT) | instid1(VALU_DEP_2)
	v_add_co_u32 v3, vcc_lo, s18, v5
	v_add_co_ci_u32_e32 v4, vcc_lo, s19, v6, vcc_lo
	v_add_co_u32 v5, vcc_lo, s16, v5
	v_add_co_ci_u32_e32 v6, vcc_lo, s17, v6, vcc_lo
	s_and_not1_b32 vcc_lo, exec_lo, s3
	global_load_b64 v[9:10], v[3:4], off
	global_load_b64 v[7:8], v[5:6], off
	s_waitcnt vmcnt(1)
	v_cvt_f32_f16_e32 v13, v9
	s_cbranch_vccnz .LBB6_57
; %bb.50:                               ;   in Loop: Header=BB6_49 Depth=1
	global_load_b32 v1, v2, s[8:9]
	s_waitcnt vmcnt(0)
	v_div_scale_f32 v14, null, v1, v1, v13
	s_delay_alu instid0(VALU_DEP_1) | instskip(SKIP_2) | instid1(VALU_DEP_1)
	v_rcp_f32_e32 v15, v14
	s_waitcnt_depctr 0xfff
	v_fma_f32 v16, -v14, v15, 1.0
	v_fmac_f32_e32 v15, v16, v15
	v_div_scale_f32 v16, vcc_lo, v13, v1, v13
	s_delay_alu instid0(VALU_DEP_1) | instskip(NEXT) | instid1(VALU_DEP_1)
	v_mul_f32_e32 v17, v16, v15
	v_fma_f32 v18, -v14, v17, v16
	s_delay_alu instid0(VALU_DEP_1) | instskip(NEXT) | instid1(VALU_DEP_1)
	v_fmac_f32_e32 v17, v18, v15
	v_fma_f32 v14, -v14, v17, v16
	s_delay_alu instid0(VALU_DEP_1) | instskip(NEXT) | instid1(VALU_DEP_1)
	v_div_fmas_f32 v14, v14, v15, v17
	v_div_fixup_f32 v13, v14, v1, v13
	s_delay_alu instid0(VALU_DEP_1) | instskip(SKIP_2) | instid1(VALU_DEP_1)
	v_cvt_f16_f32_e32 v1, v13
	v_lshrrev_b32_e32 v9, 16, v9
	s_and_not1_b32 vcc_lo, exec_lo, s3
	v_cvt_f32_f16_e32 v14, v9
	s_cbranch_vccnz .LBB6_52
.LBB6_51:                               ;   in Loop: Header=BB6_49 Depth=1
	global_load_b32 v9, v2, s[8:9]
	s_waitcnt vmcnt(0)
	v_div_scale_f32 v15, null, v9, v9, v14
	s_delay_alu instid0(VALU_DEP_1) | instskip(SKIP_2) | instid1(VALU_DEP_1)
	v_rcp_f32_e32 v16, v15
	s_waitcnt_depctr 0xfff
	v_fma_f32 v17, -v15, v16, 1.0
	v_fmac_f32_e32 v16, v17, v16
	v_div_scale_f32 v17, vcc_lo, v14, v9, v14
	s_delay_alu instid0(VALU_DEP_1) | instskip(NEXT) | instid1(VALU_DEP_1)
	v_mul_f32_e32 v18, v17, v16
	v_fma_f32 v19, -v15, v18, v17
	s_delay_alu instid0(VALU_DEP_1) | instskip(NEXT) | instid1(VALU_DEP_1)
	v_fmac_f32_e32 v18, v19, v16
	v_fma_f32 v15, -v15, v18, v17
	s_delay_alu instid0(VALU_DEP_1) | instskip(NEXT) | instid1(VALU_DEP_1)
	v_div_fmas_f32 v15, v15, v16, v18
	v_div_fixup_f32 v14, v15, v9, v14
	s_delay_alu instid0(VALU_DEP_1)
	v_cvt_f16_f32_e32 v9, v14
.LBB6_52:                               ;   in Loop: Header=BB6_49 Depth=1
	v_cvt_f32_f16_e32 v16, v10
	s_and_not1_b32 vcc_lo, exec_lo, s3
	s_cbranch_vccnz .LBB6_58
; %bb.53:                               ;   in Loop: Header=BB6_49 Depth=1
	global_load_b32 v15, v2, s[8:9]
	s_waitcnt vmcnt(0)
	v_div_scale_f32 v17, null, v15, v15, v16
	s_delay_alu instid0(VALU_DEP_1) | instskip(SKIP_2) | instid1(VALU_DEP_1)
	v_rcp_f32_e32 v18, v17
	s_waitcnt_depctr 0xfff
	v_fma_f32 v19, -v17, v18, 1.0
	v_fmac_f32_e32 v18, v19, v18
	v_div_scale_f32 v19, vcc_lo, v16, v15, v16
	s_delay_alu instid0(VALU_DEP_1) | instskip(NEXT) | instid1(VALU_DEP_1)
	v_mul_f32_e32 v20, v19, v18
	v_fma_f32 v21, -v17, v20, v19
	s_delay_alu instid0(VALU_DEP_1) | instskip(NEXT) | instid1(VALU_DEP_1)
	v_fmac_f32_e32 v20, v21, v18
	v_fma_f32 v17, -v17, v20, v19
	s_delay_alu instid0(VALU_DEP_1) | instskip(NEXT) | instid1(VALU_DEP_1)
	v_div_fmas_f32 v17, v17, v18, v20
	v_div_fixup_f32 v16, v17, v15, v16
	s_delay_alu instid0(VALU_DEP_1) | instskip(SKIP_2) | instid1(VALU_DEP_1)
	v_cvt_f16_f32_e32 v15, v16
	v_lshrrev_b32_e32 v10, 16, v10
	s_and_not1_b32 vcc_lo, exec_lo, s3
	v_cvt_f32_f16_e32 v17, v10
	s_cbranch_vccnz .LBB6_55
.LBB6_54:                               ;   in Loop: Header=BB6_49 Depth=1
	global_load_b32 v10, v2, s[8:9]
	s_waitcnt vmcnt(0)
	v_div_scale_f32 v18, null, v10, v10, v17
	s_delay_alu instid0(VALU_DEP_1) | instskip(SKIP_2) | instid1(VALU_DEP_1)
	v_rcp_f32_e32 v19, v18
	s_waitcnt_depctr 0xfff
	v_fma_f32 v20, -v18, v19, 1.0
	v_fmac_f32_e32 v19, v20, v19
	v_div_scale_f32 v20, vcc_lo, v17, v10, v17
	s_delay_alu instid0(VALU_DEP_1) | instskip(NEXT) | instid1(VALU_DEP_1)
	v_mul_f32_e32 v21, v20, v19
	v_fma_f32 v22, -v18, v21, v20
	s_delay_alu instid0(VALU_DEP_1) | instskip(NEXT) | instid1(VALU_DEP_1)
	v_fmac_f32_e32 v21, v22, v19
	v_fma_f32 v18, -v18, v21, v20
	s_delay_alu instid0(VALU_DEP_1) | instskip(NEXT) | instid1(VALU_DEP_1)
	v_div_fmas_f32 v18, v18, v19, v21
	v_div_fixup_f32 v17, v18, v10, v17
	s_delay_alu instid0(VALU_DEP_1)
	v_cvt_f16_f32_e32 v10, v17
.LBB6_55:                               ;   in Loop: Header=BB6_49 Depth=1
	v_cndmask_b32_e64 v13, v13, -v13, s7
	v_cndmask_b32_e64 v16, v16, -v16, s7
	;; [unrolled: 1-line block ×4, first 2 shown]
	s_and_not1_b32 vcc_lo, exec_lo, s3
	s_waitcnt vmcnt(0)
	v_fma_mix_f32 v18, v12, v7, v13 op_sel_hi:[0,1,0]
	v_fma_mix_f32 v19, v12, v8, v16 op_sel_hi:[0,1,0]
	v_fma_mix_f32 v20, v12, v7, v14 op_sel:[0,1,0] op_sel_hi:[0,1,0]
	v_fma_mix_f32 v21, v12, v8, v17 op_sel:[0,1,0] op_sel_hi:[0,1,0]
	s_delay_alu instid0(VALU_DEP_4) | instskip(NEXT) | instid1(VALU_DEP_4)
	v_cndmask_b32_e64 v13, v13, v18, s0
	v_cndmask_b32_e64 v16, v16, v19, s0
	s_delay_alu instid0(VALU_DEP_4) | instskip(NEXT) | instid1(VALU_DEP_4)
	v_cndmask_b32_e64 v18, v14, v20, s0
	v_cndmask_b32_e64 v17, v17, v21, s0
	s_delay_alu instid0(VALU_DEP_4) | instskip(NEXT) | instid1(VALU_DEP_4)
	v_fma_mixlo_f16 v13, -v11, v13, v7 op_sel_hi:[0,0,1]
	v_fma_mixlo_f16 v14, -v11, v16, v8 op_sel_hi:[0,0,1]
	s_delay_alu instid0(VALU_DEP_2) | instskip(NEXT) | instid1(VALU_DEP_2)
	v_fma_mixhi_f16 v13, -v11, v18, v7 op_sel:[0,0,1] op_sel_hi:[0,0,1]
	v_fma_mixhi_f16 v14, -v11, v17, v8 op_sel:[0,0,1] op_sel_hi:[0,0,1]
	global_store_b64 v[5:6], v[13:14], off
	s_cbranch_vccnz .LBB6_48
; %bb.56:                               ;   in Loop: Header=BB6_49 Depth=1
	v_perm_b32 v6, v10, v15, 0x5040100
	v_perm_b32 v5, v9, v1, 0x5040100
	global_store_b64 v[3:4], v[5:6], off
	s_branch .LBB6_48
.LBB6_57:                               ;   in Loop: Header=BB6_49 Depth=1
	v_mov_b32_e32 v1, v9
	v_lshrrev_b32_e32 v9, 16, v9
	s_and_not1_b32 vcc_lo, exec_lo, s3
	s_delay_alu instid0(VALU_DEP_1)
	v_cvt_f32_f16_e32 v14, v9
	s_cbranch_vccz .LBB6_51
	s_branch .LBB6_52
.LBB6_58:                               ;   in Loop: Header=BB6_49 Depth=1
	v_mov_b32_e32 v15, v10
	v_lshrrev_b32_e32 v10, 16, v10
	s_and_not1_b32 vcc_lo, exec_lo, s3
	s_delay_alu instid0(VALU_DEP_1)
	v_cvt_f32_f16_e32 v17, v10
	s_cbranch_vccz .LBB6_54
	s_branch .LBB6_55
.LBB6_59:
	s_nop 0
	s_sendmsg sendmsg(MSG_DEALLOC_VGPRS)
	s_endpgm
.LBB6_60:
                                        ; implicit-def: $sgpr4
	s_load_b32 s2, s[2:3], 0x740
	v_mov_b32_e32 v11, s4
	s_branch .LBB6_5
	.section	.rodata,"a",@progbits
	.p2align	6, 0x0
	.amdhsa_kernel _ZN2at6native12_GLOBAL__N_125multi_tensor_apply_kernelINS1_18TensorListMetadataILi2EEENS1_19FusedSgdMathFunctorIN3c104HalfELi2EEEJddPfddbbbS9_S9_EEEvT_T0_DpT1_
		.amdhsa_group_segment_fixed_size 0
		.amdhsa_private_segment_fixed_size 0
		.amdhsa_kernarg_size 3472
		.amdhsa_user_sgpr_count 15
		.amdhsa_user_sgpr_dispatch_ptr 0
		.amdhsa_user_sgpr_queue_ptr 0
		.amdhsa_user_sgpr_kernarg_segment_ptr 1
		.amdhsa_user_sgpr_dispatch_id 0
		.amdhsa_user_sgpr_private_segment_size 0
		.amdhsa_wavefront_size32 1
		.amdhsa_uses_dynamic_stack 0
		.amdhsa_enable_private_segment 0
		.amdhsa_system_sgpr_workgroup_id_x 1
		.amdhsa_system_sgpr_workgroup_id_y 0
		.amdhsa_system_sgpr_workgroup_id_z 0
		.amdhsa_system_sgpr_workgroup_info 0
		.amdhsa_system_vgpr_workitem_id 0
		.amdhsa_next_free_vgpr 27
		.amdhsa_next_free_sgpr 25
		.amdhsa_reserve_vcc 1
		.amdhsa_float_round_mode_32 0
		.amdhsa_float_round_mode_16_64 0
		.amdhsa_float_denorm_mode_32 3
		.amdhsa_float_denorm_mode_16_64 3
		.amdhsa_dx10_clamp 1
		.amdhsa_ieee_mode 1
		.amdhsa_fp16_overflow 0
		.amdhsa_workgroup_processor_mode 1
		.amdhsa_memory_ordered 1
		.amdhsa_forward_progress 0
		.amdhsa_shared_vgpr_count 0
		.amdhsa_exception_fp_ieee_invalid_op 0
		.amdhsa_exception_fp_denorm_src 0
		.amdhsa_exception_fp_ieee_div_zero 0
		.amdhsa_exception_fp_ieee_overflow 0
		.amdhsa_exception_fp_ieee_underflow 0
		.amdhsa_exception_fp_ieee_inexact 0
		.amdhsa_exception_int_div_zero 0
	.end_amdhsa_kernel
	.section	.text._ZN2at6native12_GLOBAL__N_125multi_tensor_apply_kernelINS1_18TensorListMetadataILi2EEENS1_19FusedSgdMathFunctorIN3c104HalfELi2EEEJddPfddbbbS9_S9_EEEvT_T0_DpT1_,"axG",@progbits,_ZN2at6native12_GLOBAL__N_125multi_tensor_apply_kernelINS1_18TensorListMetadataILi2EEENS1_19FusedSgdMathFunctorIN3c104HalfELi2EEEJddPfddbbbS9_S9_EEEvT_T0_DpT1_,comdat
.Lfunc_end6:
	.size	_ZN2at6native12_GLOBAL__N_125multi_tensor_apply_kernelINS1_18TensorListMetadataILi2EEENS1_19FusedSgdMathFunctorIN3c104HalfELi2EEEJddPfddbbbS9_S9_EEEvT_T0_DpT1_, .Lfunc_end6-_ZN2at6native12_GLOBAL__N_125multi_tensor_apply_kernelINS1_18TensorListMetadataILi2EEENS1_19FusedSgdMathFunctorIN3c104HalfELi2EEEJddPfddbbbS9_S9_EEEvT_T0_DpT1_
                                        ; -- End function
	.section	.AMDGPU.csdata,"",@progbits
; Kernel info:
; codeLenInByte = 3008
; NumSgprs: 27
; NumVgprs: 27
; ScratchSize: 0
; MemoryBound: 0
; FloatMode: 240
; IeeeMode: 1
; LDSByteSize: 0 bytes/workgroup (compile time only)
; SGPRBlocks: 3
; VGPRBlocks: 3
; NumSGPRsForWavesPerEU: 27
; NumVGPRsForWavesPerEU: 27
; Occupancy: 16
; WaveLimiterHint : 0
; COMPUTE_PGM_RSRC2:SCRATCH_EN: 0
; COMPUTE_PGM_RSRC2:USER_SGPR: 15
; COMPUTE_PGM_RSRC2:TRAP_HANDLER: 0
; COMPUTE_PGM_RSRC2:TGID_X_EN: 1
; COMPUTE_PGM_RSRC2:TGID_Y_EN: 0
; COMPUTE_PGM_RSRC2:TGID_Z_EN: 0
; COMPUTE_PGM_RSRC2:TIDIG_COMP_CNT: 0
	.section	.text._ZN2at6native12_GLOBAL__N_125multi_tensor_apply_kernelINS1_18TensorListMetadataILi2EEENS1_19FusedSgdMathFunctorIN3c108BFloat16ELi2EEEJddPfddbbbS9_S9_EEEvT_T0_DpT1_,"axG",@progbits,_ZN2at6native12_GLOBAL__N_125multi_tensor_apply_kernelINS1_18TensorListMetadataILi2EEENS1_19FusedSgdMathFunctorIN3c108BFloat16ELi2EEEJddPfddbbbS9_S9_EEEvT_T0_DpT1_,comdat
	.globl	_ZN2at6native12_GLOBAL__N_125multi_tensor_apply_kernelINS1_18TensorListMetadataILi2EEENS1_19FusedSgdMathFunctorIN3c108BFloat16ELi2EEEJddPfddbbbS9_S9_EEEvT_T0_DpT1_ ; -- Begin function _ZN2at6native12_GLOBAL__N_125multi_tensor_apply_kernelINS1_18TensorListMetadataILi2EEENS1_19FusedSgdMathFunctorIN3c108BFloat16ELi2EEEJddPfddbbbS9_S9_EEEvT_T0_DpT1_
	.p2align	8
	.type	_ZN2at6native12_GLOBAL__N_125multi_tensor_apply_kernelINS1_18TensorListMetadataILi2EEENS1_19FusedSgdMathFunctorIN3c108BFloat16ELi2EEEJddPfddbbbS9_S9_EEEvT_T0_DpT1_,@function
_ZN2at6native12_GLOBAL__N_125multi_tensor_apply_kernelINS1_18TensorListMetadataILi2EEENS1_19FusedSgdMathFunctorIN3c108BFloat16ELi2EEEJddPfddbbbS9_S9_EEEvT_T0_DpT1_: ; @_ZN2at6native12_GLOBAL__N_125multi_tensor_apply_kernelINS1_18TensorListMetadataILi2EEENS1_19FusedSgdMathFunctorIN3c108BFloat16ELi2EEEJddPfddbbbS9_S9_EEEvT_T0_DpT1_
; %bb.0:
	s_load_b128 s[8:11], s[0:1], 0xc80
	s_waitcnt lgkmcnt(0)
	s_cmp_eq_u64 s[10:11], 0
	s_cselect_b32 s2, -1, 0
	s_delay_alu instid0(SALU_CYCLE_1)
	s_and_b32 vcc_lo, exec_lo, s2
	s_cbranch_vccnz .LBB7_2
; %bb.1:
	s_load_b32 s2, s[10:11], 0x0
	s_waitcnt lgkmcnt(0)
	v_cmp_neq_f32_e64 s2, s2, 1.0
.LBB7_2:
	s_delay_alu instid0(VALU_DEP_1)
	s_and_not1_b32 vcc_lo, exec_lo, s2
	s_cbranch_vccnz .LBB7_67
; %bb.3:
	v_mov_b32_e32 v1, s15
	s_add_u32 s2, s0, s15
	s_mul_hi_u32 s3, s15, 3
	s_mul_i32 s15, s15, 3
	s_addc_u32 s11, s1, 0
	global_load_u8 v1, v1, s[0:1] offset:1536
	s_load_b128 s[4:7], s[0:1], 0xc60
	s_add_u32 s2, s2, s15
	s_addc_u32 s3, s11, s3
	s_mov_b32 s11, 0
	s_waitcnt lgkmcnt(0)
	s_cmp_eq_u64 s[4:5], 0
	s_waitcnt vmcnt(0)
	v_readfirstlane_b32 s10, v1
	s_cbranch_scc1 .LBB7_68
; %bb.4:
	s_load_b32 s4, s[4:5], 0x0
	s_load_b32 s2, s[2:3], 0x740
	s_waitcnt lgkmcnt(0)
	v_mov_b32_e32 v11, s4
	s_and_not1_b32 vcc_lo, exec_lo, s11
	s_cbranch_vccnz .LBB7_6
.LBB7_5:
	v_cvt_f32_f64_e32 v11, s[6:7]
.LBB7_6:
	s_clause 0x1
	s_load_b32 s3, s[0:1], 0xc78
	s_load_b64 s[4:5], s[0:1], 0xc50
	s_mov_b32 s21, 0
	s_delay_alu instid0(SALU_CYCLE_1)
	s_mov_b32 s23, s21
	s_waitcnt lgkmcnt(0)
	s_bitcmp1_b32 s3, 8
	v_cvt_f32_f64_e32 v12, s[4:5]
	s_cselect_b32 s7, -1, 0
	s_and_b32 s3, s10, 0xff
	s_delay_alu instid0(SALU_CYCLE_1)
	s_lshl_b32 s3, s3, 3
	s_clause 0x2
	s_load_b64 s[12:13], s[0:1], s3 offset:0x400
	s_load_b64 s[4:5], s[0:1], s3 offset:0x0
	;; [unrolled: 1-line block ×3, first 2 shown]
	s_ashr_i32 s3, s2, 31
	s_delay_alu instid0(SALU_CYCLE_1) | instskip(SKIP_4) | instid1(SALU_CYCLE_1)
	s_lshl_b64 s[10:11], s[2:3], 16
	s_waitcnt lgkmcnt(0)
	s_sub_u32 s10, s12, s10
	s_subb_u32 s11, s13, s11
	s_lshl_b64 s[2:3], s[2:3], 17
	s_add_u32 s16, s4, s2
	s_addc_u32 s17, s5, s3
	s_and_b32 s20, s16, 7
	s_add_u32 s18, s14, s2
	s_addc_u32 s19, s15, s3
	s_and_b32 s22, s18, 7
	s_and_b32 s2, s12, 3
	s_mov_b32 s3, s21
	s_delay_alu instid0(SALU_CYCLE_1) | instskip(NEXT) | instid1(SALU_CYCLE_1)
	s_or_b64 s[2:3], s[2:3], s[22:23]
	s_or_b64 s[2:3], s[2:3], s[20:21]
	s_delay_alu instid0(SALU_CYCLE_1)
	s_cmp_eq_u64 s[2:3], 0
	s_mov_b32 s2, -1
	s_cbranch_scc1 .LBB7_53
; %bb.7:
	v_cmp_lt_i64_e64 s2, s[10:11], 1
	s_delay_alu instid0(VALU_DEP_1)
	s_and_b32 vcc_lo, exec_lo, s2
	s_cbranch_vccnz .LBB7_52
; %bb.8:
	s_load_b32 s2, s[0:1], 0xc9c
	v_cmp_gt_i64_e64 s3, 0x10000, s[10:11]
	s_mov_b64 s[14:15], 0
	s_delay_alu instid0(VALU_DEP_1)
	s_and_b32 s3, s3, exec_lo
	s_cselect_b32 s13, s11, 0
	s_cselect_b32 s12, s10, 0x10000
	s_waitcnt lgkmcnt(0)
	s_and_b32 s20, s2, 0xffff
	v_cmp_neq_f32_e64 s2, 0, v12
	s_lshl_b32 s21, s20, 1
	s_cmp_lg_u64 s[8:9], 0
	s_mul_i32 s23, s20, 3
	s_cselect_b32 s22, -1, 0
	s_lshl_b32 s24, s20, 2
	s_branch .LBB7_11
.LBB7_9:                                ;   in Loop: Header=BB7_11 Depth=1
	s_or_b32 exec_lo, exec_lo, s3
.LBB7_10:                               ;   in Loop: Header=BB7_11 Depth=1
	s_add_i32 s14, s14, s24
	s_delay_alu instid0(SALU_CYCLE_1) | instskip(NEXT) | instid1(SALU_CYCLE_1)
	s_ashr_i32 s15, s14, 31
	v_cmp_lt_i64_e64 s3, s[14:15], s[12:13]
	s_delay_alu instid0(VALU_DEP_1)
	s_and_b32 vcc_lo, exec_lo, s3
	s_cbranch_vccz .LBB7_52
.LBB7_11:                               ; =>This Inner Loop Header: Depth=1
	v_add_co_u32 v1, s3, s14, v0
	s_delay_alu instid0(VALU_DEP_1) | instskip(SKIP_1) | instid1(VALU_DEP_2)
	v_add_co_ci_u32_e64 v2, null, s15, 0, s3
	v_mov_b32_e32 v15, 0
	v_cmp_gt_i64_e64 s3, s[12:13], v[1:2]
	s_delay_alu instid0(VALU_DEP_1)
	s_and_saveexec_b32 s4, s3
	s_cbranch_execz .LBB7_13
; %bb.12:                               ;   in Loop: Header=BB7_11 Depth=1
	v_lshlrev_b64 v[3:4], 1, v[1:2]
	s_delay_alu instid0(VALU_DEP_1) | instskip(NEXT) | instid1(VALU_DEP_2)
	v_add_co_u32 v3, vcc_lo, s16, v3
	v_add_co_ci_u32_e32 v4, vcc_lo, s17, v4, vcc_lo
	global_load_u16 v15, v[3:4], off
.LBB7_13:                               ;   in Loop: Header=BB7_11 Depth=1
	s_or_b32 exec_lo, exec_lo, s4
	v_mov_b32_e32 v9, 0
	s_and_saveexec_b32 s4, s3
	s_cbranch_execz .LBB7_15
; %bb.14:                               ;   in Loop: Header=BB7_11 Depth=1
	v_lshlrev_b64 v[3:4], 1, v[1:2]
	s_delay_alu instid0(VALU_DEP_1) | instskip(NEXT) | instid1(VALU_DEP_2)
	v_add_co_u32 v3, vcc_lo, s18, v3
	v_add_co_ci_u32_e32 v4, vcc_lo, s19, v4, vcc_lo
	global_load_u16 v9, v[3:4], off
.LBB7_15:                               ;   in Loop: Header=BB7_11 Depth=1
	s_or_b32 exec_lo, exec_lo, s4
	v_add_co_u32 v3, vcc_lo, v1, s20
	v_add_co_ci_u32_e32 v4, vcc_lo, 0, v2, vcc_lo
	v_mov_b32_e32 v10, 0
	v_mov_b32_e32 v16, 0
	s_delay_alu instid0(VALU_DEP_3) | instskip(NEXT) | instid1(VALU_DEP_1)
	v_cmp_gt_i64_e64 s4, s[12:13], v[3:4]
	s_and_saveexec_b32 s5, s4
	s_cbranch_execz .LBB7_17
; %bb.16:                               ;   in Loop: Header=BB7_11 Depth=1
	v_lshlrev_b64 v[5:6], 1, v[3:4]
	s_delay_alu instid0(VALU_DEP_1) | instskip(NEXT) | instid1(VALU_DEP_2)
	v_add_co_u32 v5, vcc_lo, s16, v5
	v_add_co_ci_u32_e32 v6, vcc_lo, s17, v6, vcc_lo
	global_load_u16 v16, v[5:6], off
.LBB7_17:                               ;   in Loop: Header=BB7_11 Depth=1
	s_or_b32 exec_lo, exec_lo, s5
	s_and_saveexec_b32 s5, s4
	s_cbranch_execz .LBB7_19
; %bb.18:                               ;   in Loop: Header=BB7_11 Depth=1
	v_lshlrev_b64 v[5:6], 1, v[3:4]
	s_delay_alu instid0(VALU_DEP_1) | instskip(NEXT) | instid1(VALU_DEP_2)
	v_add_co_u32 v5, vcc_lo, s18, v5
	v_add_co_ci_u32_e32 v6, vcc_lo, s19, v6, vcc_lo
	global_load_u16 v10, v[5:6], off
.LBB7_19:                               ;   in Loop: Header=BB7_11 Depth=1
	s_or_b32 exec_lo, exec_lo, s5
	v_add_co_u32 v5, vcc_lo, v1, s21
	v_add_co_ci_u32_e32 v6, vcc_lo, 0, v2, vcc_lo
	v_mov_b32_e32 v13, 0
	v_mov_b32_e32 v17, 0
	s_delay_alu instid0(VALU_DEP_3) | instskip(NEXT) | instid1(VALU_DEP_1)
	v_cmp_gt_i64_e64 s5, s[12:13], v[5:6]
	s_and_saveexec_b32 s6, s5
	s_cbranch_execz .LBB7_21
; %bb.20:                               ;   in Loop: Header=BB7_11 Depth=1
	v_lshlrev_b64 v[7:8], 1, v[5:6]
	s_delay_alu instid0(VALU_DEP_1) | instskip(NEXT) | instid1(VALU_DEP_2)
	v_add_co_u32 v7, vcc_lo, s16, v7
	v_add_co_ci_u32_e32 v8, vcc_lo, s17, v8, vcc_lo
	global_load_u16 v17, v[7:8], off
.LBB7_21:                               ;   in Loop: Header=BB7_11 Depth=1
	s_or_b32 exec_lo, exec_lo, s6
	s_and_saveexec_b32 s6, s5
	s_cbranch_execz .LBB7_23
; %bb.22:                               ;   in Loop: Header=BB7_11 Depth=1
	v_lshlrev_b64 v[7:8], 1, v[5:6]
	s_delay_alu instid0(VALU_DEP_1) | instskip(NEXT) | instid1(VALU_DEP_2)
	v_add_co_u32 v7, vcc_lo, s18, v7
	v_add_co_ci_u32_e32 v8, vcc_lo, s19, v8, vcc_lo
	global_load_u16 v13, v[7:8], off
.LBB7_23:                               ;   in Loop: Header=BB7_11 Depth=1
	s_or_b32 exec_lo, exec_lo, s6
	v_add_co_u32 v7, vcc_lo, v1, s23
	v_add_co_ci_u32_e32 v8, vcc_lo, 0, v2, vcc_lo
	v_mov_b32_e32 v14, 0
	v_mov_b32_e32 v18, 0
	s_delay_alu instid0(VALU_DEP_3) | instskip(NEXT) | instid1(VALU_DEP_1)
	v_cmp_gt_i64_e64 s6, s[12:13], v[7:8]
	s_and_saveexec_b32 s15, s6
	s_cbranch_execnz .LBB7_38
; %bb.24:                               ;   in Loop: Header=BB7_11 Depth=1
	s_or_b32 exec_lo, exec_lo, s15
	s_and_saveexec_b32 s15, s6
	s_cbranch_execnz .LBB7_39
.LBB7_25:                               ;   in Loop: Header=BB7_11 Depth=1
	s_or_b32 exec_lo, exec_lo, s15
	s_waitcnt vmcnt(0)
	v_lshlrev_b32_e32 v19, 16, v9
	s_and_not1_b32 vcc_lo, exec_lo, s22
	s_cbranch_vccnz .LBB7_27
.LBB7_26:                               ;   in Loop: Header=BB7_11 Depth=1
	s_load_b32 s15, s[8:9], 0x0
	s_waitcnt lgkmcnt(0)
	v_div_scale_f32 v9, null, s15, s15, v19
	s_delay_alu instid0(VALU_DEP_1) | instskip(SKIP_2) | instid1(VALU_DEP_1)
	v_rcp_f32_e32 v20, v9
	s_waitcnt_depctr 0xfff
	v_fma_f32 v21, -v9, v20, 1.0
	v_fmac_f32_e32 v20, v21, v20
	v_div_scale_f32 v21, vcc_lo, v19, s15, v19
	s_delay_alu instid0(VALU_DEP_1) | instskip(NEXT) | instid1(VALU_DEP_1)
	v_mul_f32_e32 v22, v21, v20
	v_fma_f32 v23, -v9, v22, v21
	s_delay_alu instid0(VALU_DEP_1) | instskip(NEXT) | instid1(VALU_DEP_1)
	v_fmac_f32_e32 v22, v23, v20
	v_fma_f32 v9, -v9, v22, v21
	s_delay_alu instid0(VALU_DEP_1) | instskip(NEXT) | instid1(VALU_DEP_1)
	v_div_fmas_f32 v9, v9, v20, v22
	v_div_fixup_f32 v19, v9, s15, v19
	s_delay_alu instid0(VALU_DEP_1) | instskip(SKIP_1) | instid1(VALU_DEP_2)
	v_bfe_u32 v9, v19, 16, 1
	v_cmp_o_f32_e32 vcc_lo, v19, v19
	v_add3_u32 v9, v19, v9, 0x7fff
	s_delay_alu instid0(VALU_DEP_1) | instskip(NEXT) | instid1(VALU_DEP_1)
	v_lshrrev_b32_e32 v9, 16, v9
	v_cndmask_b32_e32 v9, 0x7fc0, v9, vcc_lo
.LBB7_27:                               ;   in Loop: Header=BB7_11 Depth=1
	v_lshlrev_b32_e32 v20, 16, v10
	s_and_not1_b32 vcc_lo, exec_lo, s22
	s_cbranch_vccnz .LBB7_29
; %bb.28:                               ;   in Loop: Header=BB7_11 Depth=1
	s_load_b32 s15, s[8:9], 0x0
	s_waitcnt lgkmcnt(0)
	v_div_scale_f32 v10, null, s15, s15, v20
	s_delay_alu instid0(VALU_DEP_1) | instskip(SKIP_2) | instid1(VALU_DEP_1)
	v_rcp_f32_e32 v21, v10
	s_waitcnt_depctr 0xfff
	v_fma_f32 v22, -v10, v21, 1.0
	v_fmac_f32_e32 v21, v22, v21
	v_div_scale_f32 v22, vcc_lo, v20, s15, v20
	s_delay_alu instid0(VALU_DEP_1) | instskip(NEXT) | instid1(VALU_DEP_1)
	v_mul_f32_e32 v23, v22, v21
	v_fma_f32 v24, -v10, v23, v22
	s_delay_alu instid0(VALU_DEP_1) | instskip(NEXT) | instid1(VALU_DEP_1)
	v_fmac_f32_e32 v23, v24, v21
	v_fma_f32 v10, -v10, v23, v22
	s_delay_alu instid0(VALU_DEP_1) | instskip(NEXT) | instid1(VALU_DEP_1)
	v_div_fmas_f32 v10, v10, v21, v23
	v_div_fixup_f32 v20, v10, s15, v20
	s_delay_alu instid0(VALU_DEP_1) | instskip(SKIP_1) | instid1(VALU_DEP_2)
	v_bfe_u32 v10, v20, 16, 1
	v_cmp_o_f32_e32 vcc_lo, v20, v20
	v_add3_u32 v10, v20, v10, 0x7fff
	s_delay_alu instid0(VALU_DEP_1) | instskip(NEXT) | instid1(VALU_DEP_1)
	v_lshrrev_b32_e32 v10, 16, v10
	v_cndmask_b32_e32 v10, 0x7fc0, v10, vcc_lo
.LBB7_29:                               ;   in Loop: Header=BB7_11 Depth=1
	v_lshlrev_b32_e32 v21, 16, v13
	s_and_not1_b32 vcc_lo, exec_lo, s22
	s_cbranch_vccnz .LBB7_31
; %bb.30:                               ;   in Loop: Header=BB7_11 Depth=1
	s_load_b32 s15, s[8:9], 0x0
	s_waitcnt lgkmcnt(0)
	v_div_scale_f32 v13, null, s15, s15, v21
	s_delay_alu instid0(VALU_DEP_1) | instskip(SKIP_2) | instid1(VALU_DEP_1)
	v_rcp_f32_e32 v22, v13
	s_waitcnt_depctr 0xfff
	v_fma_f32 v23, -v13, v22, 1.0
	v_fmac_f32_e32 v22, v23, v22
	v_div_scale_f32 v23, vcc_lo, v21, s15, v21
	s_delay_alu instid0(VALU_DEP_1) | instskip(NEXT) | instid1(VALU_DEP_1)
	v_mul_f32_e32 v24, v23, v22
	v_fma_f32 v25, -v13, v24, v23
	s_delay_alu instid0(VALU_DEP_1) | instskip(NEXT) | instid1(VALU_DEP_1)
	v_fmac_f32_e32 v24, v25, v22
	v_fma_f32 v13, -v13, v24, v23
	s_delay_alu instid0(VALU_DEP_1) | instskip(NEXT) | instid1(VALU_DEP_1)
	v_div_fmas_f32 v13, v13, v22, v24
	v_div_fixup_f32 v21, v13, s15, v21
	s_delay_alu instid0(VALU_DEP_1) | instskip(SKIP_1) | instid1(VALU_DEP_2)
	v_bfe_u32 v13, v21, 16, 1
	v_cmp_o_f32_e32 vcc_lo, v21, v21
	v_add3_u32 v13, v21, v13, 0x7fff
	s_delay_alu instid0(VALU_DEP_1) | instskip(NEXT) | instid1(VALU_DEP_1)
	v_lshrrev_b32_e32 v13, 16, v13
	v_cndmask_b32_e32 v13, 0x7fc0, v13, vcc_lo
.LBB7_31:                               ;   in Loop: Header=BB7_11 Depth=1
	s_waitcnt vmcnt(0)
	v_lshlrev_b32_e32 v22, 16, v14
	s_and_not1_b32 vcc_lo, exec_lo, s22
	s_cbranch_vccnz .LBB7_33
; %bb.32:                               ;   in Loop: Header=BB7_11 Depth=1
	s_load_b32 s15, s[8:9], 0x0
	s_waitcnt lgkmcnt(0)
	v_div_scale_f32 v14, null, s15, s15, v22
	s_delay_alu instid0(VALU_DEP_1) | instskip(SKIP_2) | instid1(VALU_DEP_1)
	v_rcp_f32_e32 v23, v14
	s_waitcnt_depctr 0xfff
	v_fma_f32 v24, -v14, v23, 1.0
	v_fmac_f32_e32 v23, v24, v23
	v_div_scale_f32 v24, vcc_lo, v22, s15, v22
	s_delay_alu instid0(VALU_DEP_1) | instskip(NEXT) | instid1(VALU_DEP_1)
	v_mul_f32_e32 v25, v24, v23
	v_fma_f32 v26, -v14, v25, v24
	s_delay_alu instid0(VALU_DEP_1) | instskip(NEXT) | instid1(VALU_DEP_1)
	v_fmac_f32_e32 v25, v26, v23
	v_fma_f32 v14, -v14, v25, v24
	s_delay_alu instid0(VALU_DEP_1) | instskip(NEXT) | instid1(VALU_DEP_1)
	v_div_fmas_f32 v14, v14, v23, v25
	v_div_fixup_f32 v22, v14, s15, v22
	s_delay_alu instid0(VALU_DEP_1) | instskip(SKIP_1) | instid1(VALU_DEP_2)
	v_bfe_u32 v14, v22, 16, 1
	v_cmp_o_f32_e32 vcc_lo, v22, v22
	v_add3_u32 v14, v22, v14, 0x7fff
	s_delay_alu instid0(VALU_DEP_1) | instskip(NEXT) | instid1(VALU_DEP_1)
	v_lshrrev_b32_e32 v14, 16, v14
	v_cndmask_b32_e32 v14, 0x7fc0, v14, vcc_lo
.LBB7_33:                               ;   in Loop: Header=BB7_11 Depth=1
	s_and_saveexec_b32 s15, s3
	s_cbranch_execnz .LBB7_40
; %bb.34:                               ;   in Loop: Header=BB7_11 Depth=1
	s_or_b32 exec_lo, exec_lo, s15
	s_and_saveexec_b32 s15, s4
	s_cbranch_execnz .LBB7_41
.LBB7_35:                               ;   in Loop: Header=BB7_11 Depth=1
	s_or_b32 exec_lo, exec_lo, s15
	s_and_saveexec_b32 s15, s5
	s_cbranch_execnz .LBB7_42
.LBB7_36:                               ;   in Loop: Header=BB7_11 Depth=1
	s_or_b32 exec_lo, exec_lo, s15
	s_and_saveexec_b32 s15, s6
	s_cbranch_execnz .LBB7_43
.LBB7_37:                               ;   in Loop: Header=BB7_11 Depth=1
	s_or_b32 exec_lo, exec_lo, s15
	s_delay_alu instid0(SALU_CYCLE_1)
	s_and_not1_b32 vcc_lo, exec_lo, s22
	s_cbranch_vccz .LBB7_44
	s_branch .LBB7_10
.LBB7_38:                               ;   in Loop: Header=BB7_11 Depth=1
	v_lshlrev_b64 v[18:19], 1, v[7:8]
	s_delay_alu instid0(VALU_DEP_1) | instskip(NEXT) | instid1(VALU_DEP_2)
	v_add_co_u32 v18, vcc_lo, s16, v18
	v_add_co_ci_u32_e32 v19, vcc_lo, s17, v19, vcc_lo
	global_load_u16 v18, v[18:19], off
	s_or_b32 exec_lo, exec_lo, s15
	s_and_saveexec_b32 s15, s6
	s_cbranch_execz .LBB7_25
.LBB7_39:                               ;   in Loop: Header=BB7_11 Depth=1
	v_lshlrev_b64 v[19:20], 1, v[7:8]
	s_delay_alu instid0(VALU_DEP_1) | instskip(NEXT) | instid1(VALU_DEP_2)
	v_add_co_u32 v19, vcc_lo, s18, v19
	v_add_co_ci_u32_e32 v20, vcc_lo, s19, v20, vcc_lo
	global_load_u16 v14, v[19:20], off
	s_or_b32 exec_lo, exec_lo, s15
	s_waitcnt vmcnt(1)
	v_lshlrev_b32_e32 v19, 16, v9
	s_and_not1_b32 vcc_lo, exec_lo, s22
	s_cbranch_vccz .LBB7_26
	s_branch .LBB7_27
.LBB7_40:                               ;   in Loop: Header=BB7_11 Depth=1
	v_lshlrev_b32_e32 v15, 16, v15
	v_cndmask_b32_e64 v19, v19, -v19, s7
	s_delay_alu instid0(VALU_DEP_1) | instskip(NEXT) | instid1(VALU_DEP_1)
	v_fma_f32 v23, v12, v15, v19
	v_cndmask_b32_e64 v19, v19, v23, s2
	v_lshlrev_b64 v[23:24], 1, v[1:2]
	s_delay_alu instid0(VALU_DEP_2) | instskip(NEXT) | instid1(VALU_DEP_1)
	v_fma_f32 v15, -v11, v19, v15
	v_bfe_u32 v19, v15, 16, 1
	v_cmp_o_f32_e32 vcc_lo, v15, v15
	s_delay_alu instid0(VALU_DEP_2) | instskip(NEXT) | instid1(VALU_DEP_1)
	v_add3_u32 v19, v15, v19, 0x7fff
	v_lshrrev_b32_e32 v19, 16, v19
	s_delay_alu instid0(VALU_DEP_1)
	v_cndmask_b32_e32 v15, 0x7fc0, v19, vcc_lo
	v_add_co_u32 v23, vcc_lo, s16, v23
	v_add_co_ci_u32_e32 v24, vcc_lo, s17, v24, vcc_lo
	global_store_b16 v[23:24], v15, off
	s_or_b32 exec_lo, exec_lo, s15
	s_and_saveexec_b32 s15, s4
	s_cbranch_execz .LBB7_35
.LBB7_41:                               ;   in Loop: Header=BB7_11 Depth=1
	v_lshlrev_b32_e32 v15, 16, v16
	v_cndmask_b32_e64 v16, v20, -v20, s7
	s_delay_alu instid0(VALU_DEP_1) | instskip(NEXT) | instid1(VALU_DEP_1)
	v_fma_f32 v19, v12, v15, v16
	v_cndmask_b32_e64 v16, v16, v19, s2
	s_delay_alu instid0(VALU_DEP_1) | instskip(NEXT) | instid1(VALU_DEP_1)
	v_fma_f32 v19, -v11, v16, v15
	v_bfe_u32 v15, v19, 16, 1
	v_cmp_o_f32_e32 vcc_lo, v19, v19
	s_delay_alu instid0(VALU_DEP_2) | instskip(NEXT) | instid1(VALU_DEP_1)
	v_add3_u32 v15, v19, v15, 0x7fff
	v_lshrrev_b32_e32 v20, 16, v15
	v_lshlrev_b64 v[15:16], 1, v[3:4]
	s_delay_alu instid0(VALU_DEP_2) | instskip(NEXT) | instid1(VALU_DEP_2)
	v_cndmask_b32_e32 v19, 0x7fc0, v20, vcc_lo
	v_add_co_u32 v15, vcc_lo, s16, v15
	s_delay_alu instid0(VALU_DEP_3)
	v_add_co_ci_u32_e32 v16, vcc_lo, s17, v16, vcc_lo
	global_store_b16 v[15:16], v19, off
	s_or_b32 exec_lo, exec_lo, s15
	s_and_saveexec_b32 s15, s5
	s_cbranch_execz .LBB7_36
.LBB7_42:                               ;   in Loop: Header=BB7_11 Depth=1
	v_lshlrev_b32_e32 v15, 16, v17
	v_cndmask_b32_e64 v16, v21, -v21, s7
	s_delay_alu instid0(VALU_DEP_1) | instskip(NEXT) | instid1(VALU_DEP_1)
	v_fma_f32 v17, v12, v15, v16
	v_cndmask_b32_e64 v16, v16, v17, s2
	s_delay_alu instid0(VALU_DEP_1) | instskip(NEXT) | instid1(VALU_DEP_1)
	v_fma_f32 v17, -v11, v16, v15
	v_bfe_u32 v15, v17, 16, 1
	v_cmp_o_f32_e32 vcc_lo, v17, v17
	s_delay_alu instid0(VALU_DEP_2) | instskip(NEXT) | instid1(VALU_DEP_1)
	v_add3_u32 v15, v17, v15, 0x7fff
	v_lshrrev_b32_e32 v19, 16, v15
	v_lshlrev_b64 v[15:16], 1, v[5:6]
	s_delay_alu instid0(VALU_DEP_2) | instskip(NEXT) | instid1(VALU_DEP_2)
	v_cndmask_b32_e32 v17, 0x7fc0, v19, vcc_lo
	v_add_co_u32 v15, vcc_lo, s16, v15
	s_delay_alu instid0(VALU_DEP_3)
	v_add_co_ci_u32_e32 v16, vcc_lo, s17, v16, vcc_lo
	global_store_b16 v[15:16], v17, off
	s_or_b32 exec_lo, exec_lo, s15
	s_and_saveexec_b32 s15, s6
	s_cbranch_execz .LBB7_37
.LBB7_43:                               ;   in Loop: Header=BB7_11 Depth=1
	v_lshlrev_b32_e32 v15, 16, v18
	v_cndmask_b32_e64 v16, v22, -v22, s7
	s_delay_alu instid0(VALU_DEP_1) | instskip(NEXT) | instid1(VALU_DEP_1)
	v_fma_f32 v17, v12, v15, v16
	v_cndmask_b32_e64 v16, v16, v17, s2
	s_delay_alu instid0(VALU_DEP_1) | instskip(NEXT) | instid1(VALU_DEP_1)
	v_fma_f32 v17, -v11, v16, v15
	v_bfe_u32 v15, v17, 16, 1
	v_cmp_o_f32_e32 vcc_lo, v17, v17
	s_delay_alu instid0(VALU_DEP_2) | instskip(NEXT) | instid1(VALU_DEP_1)
	v_add3_u32 v15, v17, v15, 0x7fff
	v_lshrrev_b32_e32 v18, 16, v15
	v_lshlrev_b64 v[15:16], 1, v[7:8]
	s_delay_alu instid0(VALU_DEP_2) | instskip(NEXT) | instid1(VALU_DEP_2)
	v_cndmask_b32_e32 v17, 0x7fc0, v18, vcc_lo
	v_add_co_u32 v15, vcc_lo, s16, v15
	s_delay_alu instid0(VALU_DEP_3) | instskip(SKIP_2) | instid1(SALU_CYCLE_1)
	v_add_co_ci_u32_e32 v16, vcc_lo, s17, v16, vcc_lo
	global_store_b16 v[15:16], v17, off
	s_or_b32 exec_lo, exec_lo, s15
	s_and_not1_b32 vcc_lo, exec_lo, s22
	s_cbranch_vccnz .LBB7_10
.LBB7_44:                               ;   in Loop: Header=BB7_11 Depth=1
	s_and_saveexec_b32 s15, s3
	s_cbranch_execnz .LBB7_48
; %bb.45:                               ;   in Loop: Header=BB7_11 Depth=1
	s_or_b32 exec_lo, exec_lo, s15
	s_and_saveexec_b32 s3, s4
	s_cbranch_execnz .LBB7_49
.LBB7_46:                               ;   in Loop: Header=BB7_11 Depth=1
	s_or_b32 exec_lo, exec_lo, s3
	s_and_saveexec_b32 s3, s5
	s_cbranch_execnz .LBB7_50
.LBB7_47:                               ;   in Loop: Header=BB7_11 Depth=1
	s_or_b32 exec_lo, exec_lo, s3
	s_and_saveexec_b32 s3, s6
	s_cbranch_execz .LBB7_9
	s_branch .LBB7_51
.LBB7_48:                               ;   in Loop: Header=BB7_11 Depth=1
	v_lshlrev_b64 v[1:2], 1, v[1:2]
	s_delay_alu instid0(VALU_DEP_1) | instskip(NEXT) | instid1(VALU_DEP_2)
	v_add_co_u32 v1, vcc_lo, s18, v1
	v_add_co_ci_u32_e32 v2, vcc_lo, s19, v2, vcc_lo
	global_store_b16 v[1:2], v9, off
	s_or_b32 exec_lo, exec_lo, s15
	s_and_saveexec_b32 s3, s4
	s_cbranch_execz .LBB7_46
.LBB7_49:                               ;   in Loop: Header=BB7_11 Depth=1
	v_lshlrev_b64 v[1:2], 1, v[3:4]
	s_delay_alu instid0(VALU_DEP_1) | instskip(NEXT) | instid1(VALU_DEP_2)
	v_add_co_u32 v1, vcc_lo, s18, v1
	v_add_co_ci_u32_e32 v2, vcc_lo, s19, v2, vcc_lo
	global_store_b16 v[1:2], v10, off
	s_or_b32 exec_lo, exec_lo, s3
	s_and_saveexec_b32 s3, s5
	s_cbranch_execz .LBB7_47
.LBB7_50:                               ;   in Loop: Header=BB7_11 Depth=1
	v_lshlrev_b64 v[1:2], 1, v[5:6]
	s_delay_alu instid0(VALU_DEP_1) | instskip(NEXT) | instid1(VALU_DEP_2)
	v_add_co_u32 v1, vcc_lo, s18, v1
	v_add_co_ci_u32_e32 v2, vcc_lo, s19, v2, vcc_lo
	global_store_b16 v[1:2], v13, off
	s_or_b32 exec_lo, exec_lo, s3
	s_and_saveexec_b32 s3, s6
	s_cbranch_execz .LBB7_9
.LBB7_51:                               ;   in Loop: Header=BB7_11 Depth=1
	v_lshlrev_b64 v[1:2], 1, v[7:8]
	s_delay_alu instid0(VALU_DEP_1) | instskip(NEXT) | instid1(VALU_DEP_2)
	v_add_co_u32 v1, vcc_lo, s18, v1
	v_add_co_ci_u32_e32 v2, vcc_lo, s19, v2, vcc_lo
	global_store_b16 v[1:2], v14, off
	s_branch .LBB7_9
.LBB7_52:
	s_mov_b32 s2, 0
.LBB7_53:
	s_delay_alu instid0(SALU_CYCLE_1)
	s_and_not1_b32 vcc_lo, exec_lo, s2
	s_cbranch_vccnz .LBB7_67
; %bb.54:
	v_dual_mov_b32 v2, 0 :: v_dual_lshlrev_b32 v1, 2, v0
	s_mov_b32 s2, 0
	s_mov_b32 s3, exec_lo
	s_delay_alu instid0(VALU_DEP_1)
	v_cmpx_gt_i64_e64 s[10:11], v[1:2]
	s_cbranch_execz .LBB7_67
; %bb.55:
	s_load_b32 s1, s[0:1], 0xc9c
	v_mov_b32_e32 v1, v2
	s_delay_alu instid0(VALU_DEP_4)
	v_cmp_neq_f32_e64 s0, 0, v12
	s_cmp_lg_u64 s[8:9], 0
	s_cselect_b32 s3, -1, 0
	s_waitcnt lgkmcnt(0)
	s_and_b32 s4, s1, 0xffff
	s_branch .LBB7_57
.LBB7_56:                               ;   in Loop: Header=BB7_57 Depth=1
	v_add_nc_u32_e32 v1, s4, v0
	s_delay_alu instid0(VALU_DEP_1) | instskip(SKIP_3) | instid1(VALU_DEP_4)
	v_lshlrev_b64 v[3:4], 2, v[1:2]
	v_cmp_lt_u32_e64 s1, 0x3fff, v1
	v_mov_b32_e32 v0, v1
	v_mov_b32_e32 v1, v2
	v_cmp_le_u64_e32 vcc_lo, s[10:11], v[3:4]
	s_delay_alu instid0(VALU_DEP_4) | instskip(NEXT) | instid1(SALU_CYCLE_1)
	s_or_b32 s1, s1, vcc_lo
	s_and_b32 s1, exec_lo, s1
	s_delay_alu instid0(SALU_CYCLE_1) | instskip(NEXT) | instid1(SALU_CYCLE_1)
	s_or_b32 s2, s1, s2
	s_and_not1_b32 exec_lo, exec_lo, s2
	s_cbranch_execz .LBB7_67
.LBB7_57:                               ; =>This Inner Loop Header: Depth=1
	v_lshlrev_b64 v[5:6], 3, v[0:1]
	s_delay_alu instid0(VALU_DEP_1) | instskip(NEXT) | instid1(VALU_DEP_2)
	v_add_co_u32 v3, vcc_lo, s18, v5
	v_add_co_ci_u32_e32 v4, vcc_lo, s19, v6, vcc_lo
	v_add_co_u32 v5, vcc_lo, s16, v5
	v_add_co_ci_u32_e32 v6, vcc_lo, s17, v6, vcc_lo
	s_and_not1_b32 vcc_lo, exec_lo, s3
	global_load_b64 v[7:8], v[3:4], off
	global_load_b64 v[9:10], v[5:6], off
	s_waitcnt vmcnt(1)
	v_lshlrev_b32_e32 v1, 16, v7
	s_cbranch_vccnz .LBB7_59
; %bb.58:                               ;   in Loop: Header=BB7_57 Depth=1
	global_load_b32 v13, v2, s[8:9]
	v_and_b32_e32 v7, 0xffff0000, v7
	s_waitcnt vmcnt(0)
	v_div_scale_f32 v14, null, v13, v13, v1
	v_div_scale_f32 v17, vcc_lo, v1, v13, v1
	s_delay_alu instid0(VALU_DEP_2) | instskip(SKIP_2) | instid1(VALU_DEP_1)
	v_rcp_f32_e32 v15, v14
	s_waitcnt_depctr 0xfff
	v_fma_f32 v16, -v14, v15, 1.0
	v_fmac_f32_e32 v15, v16, v15
	s_delay_alu instid0(VALU_DEP_1) | instskip(NEXT) | instid1(VALU_DEP_1)
	v_mul_f32_e32 v16, v17, v15
	v_fma_f32 v18, -v14, v16, v17
	s_delay_alu instid0(VALU_DEP_1) | instskip(NEXT) | instid1(VALU_DEP_1)
	v_fmac_f32_e32 v16, v18, v15
	v_fma_f32 v14, -v14, v16, v17
	s_delay_alu instid0(VALU_DEP_1) | instskip(NEXT) | instid1(VALU_DEP_1)
	v_div_fmas_f32 v14, v14, v15, v16
	v_div_fixup_f32 v1, v14, v13, v1
	s_delay_alu instid0(VALU_DEP_1) | instskip(SKIP_1) | instid1(VALU_DEP_2)
	v_bfe_u32 v13, v1, 16, 1
	v_cmp_o_f32_e32 vcc_lo, v1, v1
	v_add3_u32 v13, v1, v13, 0x7fff
	s_delay_alu instid0(VALU_DEP_1) | instskip(NEXT) | instid1(VALU_DEP_1)
	v_lshrrev_b32_e32 v13, 16, v13
	v_cndmask_b32_e32 v13, 0x7fc0, v13, vcc_lo
	s_delay_alu instid0(VALU_DEP_1)
	v_or_b32_e32 v7, v13, v7
.LBB7_59:                               ;   in Loop: Header=BB7_57 Depth=1
	s_delay_alu instid0(VALU_DEP_1)
	v_and_b32_e32 v13, 0xffff0000, v7
	s_and_not1_b32 vcc_lo, exec_lo, s3
	s_cbranch_vccnz .LBB7_61
; %bb.60:                               ;   in Loop: Header=BB7_57 Depth=1
	global_load_b32 v14, v2, s[8:9]
	v_and_b32_e32 v7, 0xffff, v7
	s_waitcnt vmcnt(0)
	v_div_scale_f32 v15, null, v14, v14, v13
	v_div_scale_f32 v18, vcc_lo, v13, v14, v13
	s_delay_alu instid0(VALU_DEP_2) | instskip(SKIP_2) | instid1(VALU_DEP_1)
	v_rcp_f32_e32 v16, v15
	s_waitcnt_depctr 0xfff
	v_fma_f32 v17, -v15, v16, 1.0
	v_fmac_f32_e32 v16, v17, v16
	s_delay_alu instid0(VALU_DEP_1) | instskip(NEXT) | instid1(VALU_DEP_1)
	v_mul_f32_e32 v17, v18, v16
	v_fma_f32 v19, -v15, v17, v18
	s_delay_alu instid0(VALU_DEP_1) | instskip(NEXT) | instid1(VALU_DEP_1)
	v_fmac_f32_e32 v17, v19, v16
	v_fma_f32 v15, -v15, v17, v18
	s_delay_alu instid0(VALU_DEP_1) | instskip(NEXT) | instid1(VALU_DEP_1)
	v_div_fmas_f32 v15, v15, v16, v17
	v_div_fixup_f32 v13, v15, v14, v13
	s_delay_alu instid0(VALU_DEP_1) | instskip(SKIP_1) | instid1(VALU_DEP_2)
	v_bfe_u32 v14, v13, 16, 1
	v_cmp_o_f32_e32 vcc_lo, v13, v13
	v_add3_u32 v14, v13, v14, 0x7fff
	s_delay_alu instid0(VALU_DEP_1) | instskip(NEXT) | instid1(VALU_DEP_1)
	v_and_b32_e32 v14, 0xffff0000, v14
	v_cndmask_b32_e32 v14, 0x7fc00000, v14, vcc_lo
	s_delay_alu instid0(VALU_DEP_1)
	v_or_b32_e32 v7, v14, v7
.LBB7_61:                               ;   in Loop: Header=BB7_57 Depth=1
	s_delay_alu instid0(VALU_DEP_1) | instskip(SKIP_1) | instid1(VALU_DEP_1)
	v_alignbit_b32 v14, v8, v7, 16
	s_and_not1_b32 vcc_lo, exec_lo, s3
	v_and_b32_e32 v14, 0xffff0000, v14
	s_cbranch_vccnz .LBB7_63
; %bb.62:                               ;   in Loop: Header=BB7_57 Depth=1
	global_load_b32 v15, v2, s[8:9]
	v_and_b32_e32 v8, 0xffff0000, v8
	s_waitcnt vmcnt(0)
	v_div_scale_f32 v16, null, v15, v15, v14
	v_div_scale_f32 v19, vcc_lo, v14, v15, v14
	s_delay_alu instid0(VALU_DEP_2) | instskip(SKIP_2) | instid1(VALU_DEP_1)
	v_rcp_f32_e32 v17, v16
	s_waitcnt_depctr 0xfff
	v_fma_f32 v18, -v16, v17, 1.0
	v_fmac_f32_e32 v17, v18, v17
	s_delay_alu instid0(VALU_DEP_1) | instskip(NEXT) | instid1(VALU_DEP_1)
	v_mul_f32_e32 v18, v19, v17
	v_fma_f32 v20, -v16, v18, v19
	s_delay_alu instid0(VALU_DEP_1) | instskip(NEXT) | instid1(VALU_DEP_1)
	v_fmac_f32_e32 v18, v20, v17
	v_fma_f32 v16, -v16, v18, v19
	s_delay_alu instid0(VALU_DEP_1) | instskip(NEXT) | instid1(VALU_DEP_1)
	v_div_fmas_f32 v16, v16, v17, v18
	v_div_fixup_f32 v14, v16, v15, v14
	s_delay_alu instid0(VALU_DEP_1) | instskip(SKIP_1) | instid1(VALU_DEP_2)
	v_bfe_u32 v15, v14, 16, 1
	v_cmp_o_f32_e32 vcc_lo, v14, v14
	v_add3_u32 v15, v14, v15, 0x7fff
	s_delay_alu instid0(VALU_DEP_1) | instskip(NEXT) | instid1(VALU_DEP_1)
	v_lshrrev_b32_e32 v15, 16, v15
	v_cndmask_b32_e32 v15, 0x7fc0, v15, vcc_lo
	s_delay_alu instid0(VALU_DEP_1)
	v_or_b32_e32 v8, v15, v8
.LBB7_63:                               ;   in Loop: Header=BB7_57 Depth=1
	s_delay_alu instid0(VALU_DEP_1)
	v_and_b32_e32 v15, 0xffff0000, v8
	s_and_not1_b32 vcc_lo, exec_lo, s3
	s_cbranch_vccnz .LBB7_65
; %bb.64:                               ;   in Loop: Header=BB7_57 Depth=1
	global_load_b32 v16, v2, s[8:9]
	v_and_b32_e32 v8, 0xffff, v8
	s_waitcnt vmcnt(0)
	v_div_scale_f32 v17, null, v16, v16, v15
	v_div_scale_f32 v20, vcc_lo, v15, v16, v15
	s_delay_alu instid0(VALU_DEP_2) | instskip(SKIP_2) | instid1(VALU_DEP_1)
	v_rcp_f32_e32 v18, v17
	s_waitcnt_depctr 0xfff
	v_fma_f32 v19, -v17, v18, 1.0
	v_fmac_f32_e32 v18, v19, v18
	s_delay_alu instid0(VALU_DEP_1) | instskip(NEXT) | instid1(VALU_DEP_1)
	v_mul_f32_e32 v19, v20, v18
	v_fma_f32 v21, -v17, v19, v20
	s_delay_alu instid0(VALU_DEP_1) | instskip(NEXT) | instid1(VALU_DEP_1)
	v_fmac_f32_e32 v19, v21, v18
	v_fma_f32 v17, -v17, v19, v20
	s_delay_alu instid0(VALU_DEP_1) | instskip(NEXT) | instid1(VALU_DEP_1)
	v_div_fmas_f32 v17, v17, v18, v19
	v_div_fixup_f32 v15, v17, v16, v15
	s_delay_alu instid0(VALU_DEP_1) | instskip(SKIP_1) | instid1(VALU_DEP_2)
	v_bfe_u32 v16, v15, 16, 1
	v_cmp_o_f32_e32 vcc_lo, v15, v15
	v_add3_u32 v16, v15, v16, 0x7fff
	s_delay_alu instid0(VALU_DEP_1) | instskip(NEXT) | instid1(VALU_DEP_1)
	v_and_b32_e32 v16, 0xffff0000, v16
	v_cndmask_b32_e32 v16, 0x7fc00000, v16, vcc_lo
	s_delay_alu instid0(VALU_DEP_1)
	v_or_b32_e32 v8, v16, v8
.LBB7_65:                               ;   in Loop: Header=BB7_57 Depth=1
	s_waitcnt vmcnt(0)
	v_lshlrev_b32_e32 v16, 16, v9
	v_cndmask_b32_e64 v1, v1, -v1, s7
	v_and_b32_e32 v17, 0xffff0000, v9
	v_alignbit_b32 v9, v10, v9, 16
	v_cndmask_b32_e64 v13, v13, -v13, s7
	v_and_b32_e32 v10, 0xffff0000, v10
	v_cndmask_b32_e64 v15, v15, -v15, s7
	v_fma_f32 v18, v12, v16, v1
	v_and_b32_e32 v9, 0xffff0000, v9
	v_cndmask_b32_e64 v14, v14, -v14, s7
	v_fma_f32 v19, v12, v17, v13
	v_fma_f32 v20, v12, v10, v15
	v_cndmask_b32_e64 v1, v1, v18, s0
	s_delay_alu instid0(VALU_DEP_4) | instskip(NEXT) | instid1(VALU_DEP_4)
	v_fma_f32 v18, v12, v9, v14
	v_cndmask_b32_e64 v13, v13, v19, s0
	s_delay_alu instid0(VALU_DEP_4) | instskip(NEXT) | instid1(VALU_DEP_4)
	v_cndmask_b32_e64 v15, v15, v20, s0
	v_fma_f32 v1, -v11, v1, v16
	s_delay_alu instid0(VALU_DEP_4) | instskip(NEXT) | instid1(VALU_DEP_4)
	v_cndmask_b32_e64 v14, v14, v18, s0
	v_fma_f32 v13, -v11, v13, v17
	s_delay_alu instid0(VALU_DEP_4) | instskip(NEXT) | instid1(VALU_DEP_4)
	v_fma_f32 v10, -v11, v15, v10
	v_bfe_u32 v15, v1, 16, 1
	v_cmp_o_f32_e32 vcc_lo, v1, v1
	v_fma_f32 v9, -v11, v14, v9
	v_bfe_u32 v14, v13, 16, 1
	v_bfe_u32 v16, v10, 16, 1
	v_add3_u32 v15, v1, v15, 0x7fff
	s_delay_alu instid0(VALU_DEP_4) | instskip(NEXT) | instid1(VALU_DEP_4)
	v_bfe_u32 v17, v9, 16, 1
	v_add3_u32 v14, v13, v14, 0x7fff
	s_delay_alu instid0(VALU_DEP_4) | instskip(NEXT) | instid1(VALU_DEP_4)
	v_add3_u32 v16, v10, v16, 0x7fff
	v_lshrrev_b32_e32 v15, 16, v15
	s_delay_alu instid0(VALU_DEP_4) | instskip(NEXT) | instid1(VALU_DEP_4)
	v_add3_u32 v17, v9, v17, 0x7fff
	v_and_b32_e32 v14, 0xffff0000, v14
	s_delay_alu instid0(VALU_DEP_4) | instskip(NEXT) | instid1(VALU_DEP_4)
	v_and_b32_e32 v16, 0xffff0000, v16
	v_cndmask_b32_e32 v1, 0x7fc0, v15, vcc_lo
	v_cmp_o_f32_e32 vcc_lo, v13, v13
	v_lshrrev_b32_e32 v15, 16, v17
	v_cndmask_b32_e32 v13, 0x7fc00000, v14, vcc_lo
	v_cmp_o_f32_e32 vcc_lo, v10, v10
	s_delay_alu instid0(VALU_DEP_2) | instskip(SKIP_4) | instid1(VALU_DEP_1)
	v_or_b32_e32 v1, v13, v1
	v_cndmask_b32_e32 v10, 0x7fc00000, v16, vcc_lo
	v_cmp_o_f32_e32 vcc_lo, v9, v9
	v_cndmask_b32_e32 v9, 0x7fc0, v15, vcc_lo
	s_and_not1_b32 vcc_lo, exec_lo, s3
	v_or3_b32 v10, 0, v9, v10
	v_or3_b32 v9, v1, 0, 0
	global_store_b64 v[5:6], v[9:10], off
	s_cbranch_vccnz .LBB7_56
; %bb.66:                               ;   in Loop: Header=BB7_57 Depth=1
	global_store_b64 v[3:4], v[7:8], off
	s_branch .LBB7_56
.LBB7_67:
	s_nop 0
	s_sendmsg sendmsg(MSG_DEALLOC_VGPRS)
	s_endpgm
.LBB7_68:
                                        ; implicit-def: $sgpr4
	s_load_b32 s2, s[2:3], 0x740
	v_mov_b32_e32 v11, s4
	s_branch .LBB7_5
	.section	.rodata,"a",@progbits
	.p2align	6, 0x0
	.amdhsa_kernel _ZN2at6native12_GLOBAL__N_125multi_tensor_apply_kernelINS1_18TensorListMetadataILi2EEENS1_19FusedSgdMathFunctorIN3c108BFloat16ELi2EEEJddPfddbbbS9_S9_EEEvT_T0_DpT1_
		.amdhsa_group_segment_fixed_size 0
		.amdhsa_private_segment_fixed_size 0
		.amdhsa_kernarg_size 3472
		.amdhsa_user_sgpr_count 15
		.amdhsa_user_sgpr_dispatch_ptr 0
		.amdhsa_user_sgpr_queue_ptr 0
		.amdhsa_user_sgpr_kernarg_segment_ptr 1
		.amdhsa_user_sgpr_dispatch_id 0
		.amdhsa_user_sgpr_private_segment_size 0
		.amdhsa_wavefront_size32 1
		.amdhsa_uses_dynamic_stack 0
		.amdhsa_enable_private_segment 0
		.amdhsa_system_sgpr_workgroup_id_x 1
		.amdhsa_system_sgpr_workgroup_id_y 0
		.amdhsa_system_sgpr_workgroup_id_z 0
		.amdhsa_system_sgpr_workgroup_info 0
		.amdhsa_system_vgpr_workitem_id 0
		.amdhsa_next_free_vgpr 27
		.amdhsa_next_free_sgpr 25
		.amdhsa_reserve_vcc 1
		.amdhsa_float_round_mode_32 0
		.amdhsa_float_round_mode_16_64 0
		.amdhsa_float_denorm_mode_32 3
		.amdhsa_float_denorm_mode_16_64 3
		.amdhsa_dx10_clamp 1
		.amdhsa_ieee_mode 1
		.amdhsa_fp16_overflow 0
		.amdhsa_workgroup_processor_mode 1
		.amdhsa_memory_ordered 1
		.amdhsa_forward_progress 0
		.amdhsa_shared_vgpr_count 0
		.amdhsa_exception_fp_ieee_invalid_op 0
		.amdhsa_exception_fp_denorm_src 0
		.amdhsa_exception_fp_ieee_div_zero 0
		.amdhsa_exception_fp_ieee_overflow 0
		.amdhsa_exception_fp_ieee_underflow 0
		.amdhsa_exception_fp_ieee_inexact 0
		.amdhsa_exception_int_div_zero 0
	.end_amdhsa_kernel
	.section	.text._ZN2at6native12_GLOBAL__N_125multi_tensor_apply_kernelINS1_18TensorListMetadataILi2EEENS1_19FusedSgdMathFunctorIN3c108BFloat16ELi2EEEJddPfddbbbS9_S9_EEEvT_T0_DpT1_,"axG",@progbits,_ZN2at6native12_GLOBAL__N_125multi_tensor_apply_kernelINS1_18TensorListMetadataILi2EEENS1_19FusedSgdMathFunctorIN3c108BFloat16ELi2EEEJddPfddbbbS9_S9_EEEvT_T0_DpT1_,comdat
.Lfunc_end7:
	.size	_ZN2at6native12_GLOBAL__N_125multi_tensor_apply_kernelINS1_18TensorListMetadataILi2EEENS1_19FusedSgdMathFunctorIN3c108BFloat16ELi2EEEJddPfddbbbS9_S9_EEEvT_T0_DpT1_, .Lfunc_end7-_ZN2at6native12_GLOBAL__N_125multi_tensor_apply_kernelINS1_18TensorListMetadataILi2EEENS1_19FusedSgdMathFunctorIN3c108BFloat16ELi2EEEJddPfddbbbS9_S9_EEEvT_T0_DpT1_
                                        ; -- End function
	.section	.AMDGPU.csdata,"",@progbits
; Kernel info:
; codeLenInByte = 3864
; NumSgprs: 27
; NumVgprs: 27
; ScratchSize: 0
; MemoryBound: 0
; FloatMode: 240
; IeeeMode: 1
; LDSByteSize: 0 bytes/workgroup (compile time only)
; SGPRBlocks: 3
; VGPRBlocks: 3
; NumSGPRsForWavesPerEU: 27
; NumVGPRsForWavesPerEU: 27
; Occupancy: 16
; WaveLimiterHint : 0
; COMPUTE_PGM_RSRC2:SCRATCH_EN: 0
; COMPUTE_PGM_RSRC2:USER_SGPR: 15
; COMPUTE_PGM_RSRC2:TRAP_HANDLER: 0
; COMPUTE_PGM_RSRC2:TGID_X_EN: 1
; COMPUTE_PGM_RSRC2:TGID_Y_EN: 0
; COMPUTE_PGM_RSRC2:TGID_Z_EN: 0
; COMPUTE_PGM_RSRC2:TIDIG_COMP_CNT: 0
	.text
	.p2alignl 7, 3214868480
	.fill 96, 4, 3214868480
	.type	__hip_cuid_7d8f04acb1591e1a,@object ; @__hip_cuid_7d8f04acb1591e1a
	.section	.bss,"aw",@nobits
	.globl	__hip_cuid_7d8f04acb1591e1a
__hip_cuid_7d8f04acb1591e1a:
	.byte	0                               ; 0x0
	.size	__hip_cuid_7d8f04acb1591e1a, 1

	.ident	"AMD clang version 19.0.0git (https://github.com/RadeonOpenCompute/llvm-project roc-6.4.0 25133 c7fe45cf4b819c5991fe208aaa96edf142730f1d)"
	.section	".note.GNU-stack","",@progbits
	.addrsig
	.addrsig_sym __hip_cuid_7d8f04acb1591e1a
	.amdgpu_metadata
---
amdhsa.kernels:
  - .args:
      - .offset:         0
        .size:           3144
        .value_kind:     by_value
      - .offset:         3144
        .size:           1
        .value_kind:     by_value
      - .offset:         3152
        .size:           8
        .value_kind:     by_value
      - .offset:         3160
        .size:           8
        .value_kind:     by_value
      - .address_space:  global
        .offset:         3168
        .size:           8
        .value_kind:     global_buffer
      - .offset:         3176
        .size:           8
        .value_kind:     by_value
      - .offset:         3184
        .size:           8
        .value_kind:     by_value
      - .offset:         3192
        .size:           1
        .value_kind:     by_value
      - .offset:         3193
        .size:           1
        .value_kind:     by_value
      - .offset:         3194
        .size:           1
        .value_kind:     by_value
      - .address_space:  global
        .offset:         3200
        .size:           8
        .value_kind:     global_buffer
      - .address_space:  global
        .offset:         3208
        .size:           8
        .value_kind:     global_buffer
      - .offset:         3216
        .size:           4
        .value_kind:     hidden_block_count_x
      - .offset:         3220
        .size:           4
        .value_kind:     hidden_block_count_y
      - .offset:         3224
        .size:           4
        .value_kind:     hidden_block_count_z
      - .offset:         3228
        .size:           2
        .value_kind:     hidden_group_size_x
      - .offset:         3230
        .size:           2
        .value_kind:     hidden_group_size_y
      - .offset:         3232
        .size:           2
        .value_kind:     hidden_group_size_z
      - .offset:         3234
        .size:           2
        .value_kind:     hidden_remainder_x
      - .offset:         3236
        .size:           2
        .value_kind:     hidden_remainder_y
      - .offset:         3238
        .size:           2
        .value_kind:     hidden_remainder_z
      - .offset:         3256
        .size:           8
        .value_kind:     hidden_global_offset_x
      - .offset:         3264
        .size:           8
        .value_kind:     hidden_global_offset_y
      - .offset:         3272
        .size:           8
        .value_kind:     hidden_global_offset_z
      - .offset:         3280
        .size:           2
        .value_kind:     hidden_grid_dims
    .group_segment_fixed_size: 0
    .kernarg_segment_align: 8
    .kernarg_segment_size: 3472
    .language:       OpenCL C
    .language_version:
      - 2
      - 0
    .max_flat_workgroup_size: 512
    .name:           _ZN2at6native12_GLOBAL__N_125multi_tensor_apply_kernelINS1_18TensorListMetadataILi3EEENS1_19FusedSgdMathFunctorIdLi3EEEJddPfddbbbS7_S7_EEEvT_T0_DpT1_
    .private_segment_fixed_size: 0
    .sgpr_count:     38
    .sgpr_spill_count: 0
    .symbol:         _ZN2at6native12_GLOBAL__N_125multi_tensor_apply_kernelINS1_18TensorListMetadataILi3EEENS1_19FusedSgdMathFunctorIdLi3EEEJddPfddbbbS7_S7_EEEvT_T0_DpT1_.kd
    .uniform_work_group_size: 1
    .uses_dynamic_stack: false
    .vgpr_count:     54
    .vgpr_spill_count: 0
    .wavefront_size: 32
    .workgroup_processor_mode: 1
  - .args:
      - .offset:         0
        .size:           3144
        .value_kind:     by_value
      - .offset:         3144
        .size:           1
        .value_kind:     by_value
      - .offset:         3152
        .size:           8
        .value_kind:     by_value
      - .offset:         3160
        .size:           8
        .value_kind:     by_value
      - .address_space:  global
        .offset:         3168
        .size:           8
        .value_kind:     global_buffer
      - .offset:         3176
        .size:           8
        .value_kind:     by_value
      - .offset:         3184
        .size:           8
        .value_kind:     by_value
      - .offset:         3192
        .size:           1
        .value_kind:     by_value
      - .offset:         3193
        .size:           1
        .value_kind:     by_value
      - .offset:         3194
        .size:           1
        .value_kind:     by_value
      - .address_space:  global
        .offset:         3200
        .size:           8
        .value_kind:     global_buffer
      - .address_space:  global
        .offset:         3208
        .size:           8
        .value_kind:     global_buffer
      - .offset:         3216
        .size:           4
        .value_kind:     hidden_block_count_x
      - .offset:         3220
        .size:           4
        .value_kind:     hidden_block_count_y
      - .offset:         3224
        .size:           4
        .value_kind:     hidden_block_count_z
      - .offset:         3228
        .size:           2
        .value_kind:     hidden_group_size_x
      - .offset:         3230
        .size:           2
        .value_kind:     hidden_group_size_y
      - .offset:         3232
        .size:           2
        .value_kind:     hidden_group_size_z
      - .offset:         3234
        .size:           2
        .value_kind:     hidden_remainder_x
      - .offset:         3236
        .size:           2
        .value_kind:     hidden_remainder_y
      - .offset:         3238
        .size:           2
        .value_kind:     hidden_remainder_z
      - .offset:         3256
        .size:           8
        .value_kind:     hidden_global_offset_x
      - .offset:         3264
        .size:           8
        .value_kind:     hidden_global_offset_y
      - .offset:         3272
        .size:           8
        .value_kind:     hidden_global_offset_z
      - .offset:         3280
        .size:           2
        .value_kind:     hidden_grid_dims
    .group_segment_fixed_size: 0
    .kernarg_segment_align: 8
    .kernarg_segment_size: 3472
    .language:       OpenCL C
    .language_version:
      - 2
      - 0
    .max_flat_workgroup_size: 512
    .name:           _ZN2at6native12_GLOBAL__N_125multi_tensor_apply_kernelINS1_18TensorListMetadataILi3EEENS1_19FusedSgdMathFunctorIfLi3EEEJddPfddbbbS7_S7_EEEvT_T0_DpT1_
    .private_segment_fixed_size: 0
    .sgpr_count:     31
    .sgpr_spill_count: 0
    .symbol:         _ZN2at6native12_GLOBAL__N_125multi_tensor_apply_kernelINS1_18TensorListMetadataILi3EEENS1_19FusedSgdMathFunctorIfLi3EEEJddPfddbbbS7_S7_EEEvT_T0_DpT1_.kd
    .uniform_work_group_size: 1
    .uses_dynamic_stack: false
    .vgpr_count:     33
    .vgpr_spill_count: 0
    .wavefront_size: 32
    .workgroup_processor_mode: 1
  - .args:
      - .offset:         0
        .size:           3144
        .value_kind:     by_value
      - .offset:         3144
        .size:           1
        .value_kind:     by_value
      - .offset:         3152
        .size:           8
        .value_kind:     by_value
      - .offset:         3160
        .size:           8
        .value_kind:     by_value
      - .address_space:  global
        .offset:         3168
        .size:           8
        .value_kind:     global_buffer
      - .offset:         3176
        .size:           8
        .value_kind:     by_value
      - .offset:         3184
        .size:           8
        .value_kind:     by_value
      - .offset:         3192
        .size:           1
        .value_kind:     by_value
      - .offset:         3193
        .size:           1
        .value_kind:     by_value
      - .offset:         3194
        .size:           1
        .value_kind:     by_value
      - .address_space:  global
        .offset:         3200
        .size:           8
        .value_kind:     global_buffer
      - .address_space:  global
        .offset:         3208
        .size:           8
        .value_kind:     global_buffer
      - .offset:         3216
        .size:           4
        .value_kind:     hidden_block_count_x
      - .offset:         3220
        .size:           4
        .value_kind:     hidden_block_count_y
      - .offset:         3224
        .size:           4
        .value_kind:     hidden_block_count_z
      - .offset:         3228
        .size:           2
        .value_kind:     hidden_group_size_x
      - .offset:         3230
        .size:           2
        .value_kind:     hidden_group_size_y
      - .offset:         3232
        .size:           2
        .value_kind:     hidden_group_size_z
      - .offset:         3234
        .size:           2
        .value_kind:     hidden_remainder_x
      - .offset:         3236
        .size:           2
        .value_kind:     hidden_remainder_y
      - .offset:         3238
        .size:           2
        .value_kind:     hidden_remainder_z
      - .offset:         3256
        .size:           8
        .value_kind:     hidden_global_offset_x
      - .offset:         3264
        .size:           8
        .value_kind:     hidden_global_offset_y
      - .offset:         3272
        .size:           8
        .value_kind:     hidden_global_offset_z
      - .offset:         3280
        .size:           2
        .value_kind:     hidden_grid_dims
    .group_segment_fixed_size: 0
    .kernarg_segment_align: 8
    .kernarg_segment_size: 3472
    .language:       OpenCL C
    .language_version:
      - 2
      - 0
    .max_flat_workgroup_size: 512
    .name:           _ZN2at6native12_GLOBAL__N_125multi_tensor_apply_kernelINS1_18TensorListMetadataILi3EEENS1_19FusedSgdMathFunctorIN3c104HalfELi3EEEJddPfddbbbS9_S9_EEEvT_T0_DpT1_
    .private_segment_fixed_size: 0
    .sgpr_count:     31
    .sgpr_spill_count: 0
    .symbol:         _ZN2at6native12_GLOBAL__N_125multi_tensor_apply_kernelINS1_18TensorListMetadataILi3EEENS1_19FusedSgdMathFunctorIN3c104HalfELi3EEEJddPfddbbbS9_S9_EEEvT_T0_DpT1_.kd
    .uniform_work_group_size: 1
    .uses_dynamic_stack: false
    .vgpr_count:     34
    .vgpr_spill_count: 0
    .wavefront_size: 32
    .workgroup_processor_mode: 1
  - .args:
      - .offset:         0
        .size:           3144
        .value_kind:     by_value
      - .offset:         3144
        .size:           1
        .value_kind:     by_value
      - .offset:         3152
        .size:           8
        .value_kind:     by_value
      - .offset:         3160
        .size:           8
        .value_kind:     by_value
      - .address_space:  global
        .offset:         3168
        .size:           8
        .value_kind:     global_buffer
      - .offset:         3176
        .size:           8
        .value_kind:     by_value
      - .offset:         3184
        .size:           8
        .value_kind:     by_value
      - .offset:         3192
        .size:           1
        .value_kind:     by_value
      - .offset:         3193
        .size:           1
        .value_kind:     by_value
      - .offset:         3194
        .size:           1
        .value_kind:     by_value
      - .address_space:  global
        .offset:         3200
        .size:           8
        .value_kind:     global_buffer
      - .address_space:  global
        .offset:         3208
        .size:           8
        .value_kind:     global_buffer
      - .offset:         3216
        .size:           4
        .value_kind:     hidden_block_count_x
      - .offset:         3220
        .size:           4
        .value_kind:     hidden_block_count_y
      - .offset:         3224
        .size:           4
        .value_kind:     hidden_block_count_z
      - .offset:         3228
        .size:           2
        .value_kind:     hidden_group_size_x
      - .offset:         3230
        .size:           2
        .value_kind:     hidden_group_size_y
      - .offset:         3232
        .size:           2
        .value_kind:     hidden_group_size_z
      - .offset:         3234
        .size:           2
        .value_kind:     hidden_remainder_x
      - .offset:         3236
        .size:           2
        .value_kind:     hidden_remainder_y
      - .offset:         3238
        .size:           2
        .value_kind:     hidden_remainder_z
      - .offset:         3256
        .size:           8
        .value_kind:     hidden_global_offset_x
      - .offset:         3264
        .size:           8
        .value_kind:     hidden_global_offset_y
      - .offset:         3272
        .size:           8
        .value_kind:     hidden_global_offset_z
      - .offset:         3280
        .size:           2
        .value_kind:     hidden_grid_dims
    .group_segment_fixed_size: 0
    .kernarg_segment_align: 8
    .kernarg_segment_size: 3472
    .language:       OpenCL C
    .language_version:
      - 2
      - 0
    .max_flat_workgroup_size: 512
    .name:           _ZN2at6native12_GLOBAL__N_125multi_tensor_apply_kernelINS1_18TensorListMetadataILi3EEENS1_19FusedSgdMathFunctorIN3c108BFloat16ELi3EEEJddPfddbbbS9_S9_EEEvT_T0_DpT1_
    .private_segment_fixed_size: 0
    .sgpr_count:     32
    .sgpr_spill_count: 0
    .symbol:         _ZN2at6native12_GLOBAL__N_125multi_tensor_apply_kernelINS1_18TensorListMetadataILi3EEENS1_19FusedSgdMathFunctorIN3c108BFloat16ELi3EEEJddPfddbbbS9_S9_EEEvT_T0_DpT1_.kd
    .uniform_work_group_size: 1
    .uses_dynamic_stack: false
    .vgpr_count:     30
    .vgpr_spill_count: 0
    .wavefront_size: 32
    .workgroup_processor_mode: 1
  - .args:
      - .offset:         0
        .size:           3144
        .value_kind:     by_value
      - .offset:         3144
        .size:           1
        .value_kind:     by_value
      - .offset:         3152
        .size:           8
        .value_kind:     by_value
      - .offset:         3160
        .size:           8
        .value_kind:     by_value
      - .address_space:  global
        .offset:         3168
        .size:           8
        .value_kind:     global_buffer
      - .offset:         3176
        .size:           8
        .value_kind:     by_value
      - .offset:         3184
        .size:           8
        .value_kind:     by_value
      - .offset:         3192
        .size:           1
        .value_kind:     by_value
      - .offset:         3193
        .size:           1
        .value_kind:     by_value
      - .offset:         3194
        .size:           1
        .value_kind:     by_value
      - .address_space:  global
        .offset:         3200
        .size:           8
        .value_kind:     global_buffer
      - .address_space:  global
        .offset:         3208
        .size:           8
        .value_kind:     global_buffer
      - .offset:         3216
        .size:           4
        .value_kind:     hidden_block_count_x
      - .offset:         3220
        .size:           4
        .value_kind:     hidden_block_count_y
      - .offset:         3224
        .size:           4
        .value_kind:     hidden_block_count_z
      - .offset:         3228
        .size:           2
        .value_kind:     hidden_group_size_x
      - .offset:         3230
        .size:           2
        .value_kind:     hidden_group_size_y
      - .offset:         3232
        .size:           2
        .value_kind:     hidden_group_size_z
      - .offset:         3234
        .size:           2
        .value_kind:     hidden_remainder_x
      - .offset:         3236
        .size:           2
        .value_kind:     hidden_remainder_y
      - .offset:         3238
        .size:           2
        .value_kind:     hidden_remainder_z
      - .offset:         3256
        .size:           8
        .value_kind:     hidden_global_offset_x
      - .offset:         3264
        .size:           8
        .value_kind:     hidden_global_offset_y
      - .offset:         3272
        .size:           8
        .value_kind:     hidden_global_offset_z
      - .offset:         3280
        .size:           2
        .value_kind:     hidden_grid_dims
    .group_segment_fixed_size: 0
    .kernarg_segment_align: 8
    .kernarg_segment_size: 3472
    .language:       OpenCL C
    .language_version:
      - 2
      - 0
    .max_flat_workgroup_size: 512
    .name:           _ZN2at6native12_GLOBAL__N_125multi_tensor_apply_kernelINS1_18TensorListMetadataILi2EEENS1_19FusedSgdMathFunctorIdLi2EEEJddPfddbbbS7_S7_EEEvT_T0_DpT1_
    .private_segment_fixed_size: 0
    .sgpr_count:     29
    .sgpr_spill_count: 0
    .symbol:         _ZN2at6native12_GLOBAL__N_125multi_tensor_apply_kernelINS1_18TensorListMetadataILi2EEENS1_19FusedSgdMathFunctorIdLi2EEEJddPfddbbbS7_S7_EEEvT_T0_DpT1_.kd
    .uniform_work_group_size: 1
    .uses_dynamic_stack: false
    .vgpr_count:     37
    .vgpr_spill_count: 0
    .wavefront_size: 32
    .workgroup_processor_mode: 1
  - .args:
      - .offset:         0
        .size:           3144
        .value_kind:     by_value
      - .offset:         3144
        .size:           1
        .value_kind:     by_value
      - .offset:         3152
        .size:           8
        .value_kind:     by_value
      - .offset:         3160
        .size:           8
        .value_kind:     by_value
      - .address_space:  global
        .offset:         3168
        .size:           8
        .value_kind:     global_buffer
      - .offset:         3176
        .size:           8
        .value_kind:     by_value
      - .offset:         3184
        .size:           8
        .value_kind:     by_value
      - .offset:         3192
        .size:           1
        .value_kind:     by_value
      - .offset:         3193
        .size:           1
        .value_kind:     by_value
      - .offset:         3194
        .size:           1
        .value_kind:     by_value
      - .address_space:  global
        .offset:         3200
        .size:           8
        .value_kind:     global_buffer
      - .address_space:  global
        .offset:         3208
        .size:           8
        .value_kind:     global_buffer
      - .offset:         3216
        .size:           4
        .value_kind:     hidden_block_count_x
      - .offset:         3220
        .size:           4
        .value_kind:     hidden_block_count_y
      - .offset:         3224
        .size:           4
        .value_kind:     hidden_block_count_z
      - .offset:         3228
        .size:           2
        .value_kind:     hidden_group_size_x
      - .offset:         3230
        .size:           2
        .value_kind:     hidden_group_size_y
      - .offset:         3232
        .size:           2
        .value_kind:     hidden_group_size_z
      - .offset:         3234
        .size:           2
        .value_kind:     hidden_remainder_x
      - .offset:         3236
        .size:           2
        .value_kind:     hidden_remainder_y
      - .offset:         3238
        .size:           2
        .value_kind:     hidden_remainder_z
      - .offset:         3256
        .size:           8
        .value_kind:     hidden_global_offset_x
      - .offset:         3264
        .size:           8
        .value_kind:     hidden_global_offset_y
      - .offset:         3272
        .size:           8
        .value_kind:     hidden_global_offset_z
      - .offset:         3280
        .size:           2
        .value_kind:     hidden_grid_dims
    .group_segment_fixed_size: 0
    .kernarg_segment_align: 8
    .kernarg_segment_size: 3472
    .language:       OpenCL C
    .language_version:
      - 2
      - 0
    .max_flat_workgroup_size: 512
    .name:           _ZN2at6native12_GLOBAL__N_125multi_tensor_apply_kernelINS1_18TensorListMetadataILi2EEENS1_19FusedSgdMathFunctorIfLi2EEEJddPfddbbbS7_S7_EEEvT_T0_DpT1_
    .private_segment_fixed_size: 0
    .sgpr_count:     27
    .sgpr_spill_count: 0
    .symbol:         _ZN2at6native12_GLOBAL__N_125multi_tensor_apply_kernelINS1_18TensorListMetadataILi2EEENS1_19FusedSgdMathFunctorIfLi2EEEJddPfddbbbS7_S7_EEEvT_T0_DpT1_.kd
    .uniform_work_group_size: 1
    .uses_dynamic_stack: false
    .vgpr_count:     26
    .vgpr_spill_count: 0
    .wavefront_size: 32
    .workgroup_processor_mode: 1
  - .args:
      - .offset:         0
        .size:           3144
        .value_kind:     by_value
      - .offset:         3144
        .size:           1
        .value_kind:     by_value
      - .offset:         3152
        .size:           8
        .value_kind:     by_value
      - .offset:         3160
        .size:           8
        .value_kind:     by_value
      - .address_space:  global
        .offset:         3168
        .size:           8
        .value_kind:     global_buffer
      - .offset:         3176
        .size:           8
        .value_kind:     by_value
      - .offset:         3184
        .size:           8
        .value_kind:     by_value
      - .offset:         3192
        .size:           1
        .value_kind:     by_value
      - .offset:         3193
        .size:           1
        .value_kind:     by_value
      - .offset:         3194
        .size:           1
        .value_kind:     by_value
      - .address_space:  global
        .offset:         3200
        .size:           8
        .value_kind:     global_buffer
      - .address_space:  global
        .offset:         3208
        .size:           8
        .value_kind:     global_buffer
      - .offset:         3216
        .size:           4
        .value_kind:     hidden_block_count_x
      - .offset:         3220
        .size:           4
        .value_kind:     hidden_block_count_y
      - .offset:         3224
        .size:           4
        .value_kind:     hidden_block_count_z
      - .offset:         3228
        .size:           2
        .value_kind:     hidden_group_size_x
      - .offset:         3230
        .size:           2
        .value_kind:     hidden_group_size_y
      - .offset:         3232
        .size:           2
        .value_kind:     hidden_group_size_z
      - .offset:         3234
        .size:           2
        .value_kind:     hidden_remainder_x
      - .offset:         3236
        .size:           2
        .value_kind:     hidden_remainder_y
      - .offset:         3238
        .size:           2
        .value_kind:     hidden_remainder_z
      - .offset:         3256
        .size:           8
        .value_kind:     hidden_global_offset_x
      - .offset:         3264
        .size:           8
        .value_kind:     hidden_global_offset_y
      - .offset:         3272
        .size:           8
        .value_kind:     hidden_global_offset_z
      - .offset:         3280
        .size:           2
        .value_kind:     hidden_grid_dims
    .group_segment_fixed_size: 0
    .kernarg_segment_align: 8
    .kernarg_segment_size: 3472
    .language:       OpenCL C
    .language_version:
      - 2
      - 0
    .max_flat_workgroup_size: 512
    .name:           _ZN2at6native12_GLOBAL__N_125multi_tensor_apply_kernelINS1_18TensorListMetadataILi2EEENS1_19FusedSgdMathFunctorIN3c104HalfELi2EEEJddPfddbbbS9_S9_EEEvT_T0_DpT1_
    .private_segment_fixed_size: 0
    .sgpr_count:     27
    .sgpr_spill_count: 0
    .symbol:         _ZN2at6native12_GLOBAL__N_125multi_tensor_apply_kernelINS1_18TensorListMetadataILi2EEENS1_19FusedSgdMathFunctorIN3c104HalfELi2EEEJddPfddbbbS9_S9_EEEvT_T0_DpT1_.kd
    .uniform_work_group_size: 1
    .uses_dynamic_stack: false
    .vgpr_count:     27
    .vgpr_spill_count: 0
    .wavefront_size: 32
    .workgroup_processor_mode: 1
  - .args:
      - .offset:         0
        .size:           3144
        .value_kind:     by_value
      - .offset:         3144
        .size:           1
        .value_kind:     by_value
      - .offset:         3152
        .size:           8
        .value_kind:     by_value
      - .offset:         3160
        .size:           8
        .value_kind:     by_value
      - .address_space:  global
        .offset:         3168
        .size:           8
        .value_kind:     global_buffer
      - .offset:         3176
        .size:           8
        .value_kind:     by_value
      - .offset:         3184
        .size:           8
        .value_kind:     by_value
      - .offset:         3192
        .size:           1
        .value_kind:     by_value
      - .offset:         3193
        .size:           1
        .value_kind:     by_value
      - .offset:         3194
        .size:           1
        .value_kind:     by_value
      - .address_space:  global
        .offset:         3200
        .size:           8
        .value_kind:     global_buffer
      - .address_space:  global
        .offset:         3208
        .size:           8
        .value_kind:     global_buffer
      - .offset:         3216
        .size:           4
        .value_kind:     hidden_block_count_x
      - .offset:         3220
        .size:           4
        .value_kind:     hidden_block_count_y
      - .offset:         3224
        .size:           4
        .value_kind:     hidden_block_count_z
      - .offset:         3228
        .size:           2
        .value_kind:     hidden_group_size_x
      - .offset:         3230
        .size:           2
        .value_kind:     hidden_group_size_y
      - .offset:         3232
        .size:           2
        .value_kind:     hidden_group_size_z
      - .offset:         3234
        .size:           2
        .value_kind:     hidden_remainder_x
      - .offset:         3236
        .size:           2
        .value_kind:     hidden_remainder_y
      - .offset:         3238
        .size:           2
        .value_kind:     hidden_remainder_z
      - .offset:         3256
        .size:           8
        .value_kind:     hidden_global_offset_x
      - .offset:         3264
        .size:           8
        .value_kind:     hidden_global_offset_y
      - .offset:         3272
        .size:           8
        .value_kind:     hidden_global_offset_z
      - .offset:         3280
        .size:           2
        .value_kind:     hidden_grid_dims
    .group_segment_fixed_size: 0
    .kernarg_segment_align: 8
    .kernarg_segment_size: 3472
    .language:       OpenCL C
    .language_version:
      - 2
      - 0
    .max_flat_workgroup_size: 512
    .name:           _ZN2at6native12_GLOBAL__N_125multi_tensor_apply_kernelINS1_18TensorListMetadataILi2EEENS1_19FusedSgdMathFunctorIN3c108BFloat16ELi2EEEJddPfddbbbS9_S9_EEEvT_T0_DpT1_
    .private_segment_fixed_size: 0
    .sgpr_count:     27
    .sgpr_spill_count: 0
    .symbol:         _ZN2at6native12_GLOBAL__N_125multi_tensor_apply_kernelINS1_18TensorListMetadataILi2EEENS1_19FusedSgdMathFunctorIN3c108BFloat16ELi2EEEJddPfddbbbS9_S9_EEEvT_T0_DpT1_.kd
    .uniform_work_group_size: 1
    .uses_dynamic_stack: false
    .vgpr_count:     27
    .vgpr_spill_count: 0
    .wavefront_size: 32
    .workgroup_processor_mode: 1
amdhsa.target:   amdgcn-amd-amdhsa--gfx1100
amdhsa.version:
  - 1
  - 2
...

	.end_amdgpu_metadata
